;; amdgpu-corpus repo=ROCm/rocFFT kind=compiled arch=gfx950 opt=O3
	.text
	.amdgcn_target "amdgcn-amd-amdhsa--gfx950"
	.amdhsa_code_object_version 6
	.protected	fft_rtc_back_len3125_factors_5_5_5_5_5_wgs_125_tpt_125_halfLds_half_ip_CI_sbrr_dirReg ; -- Begin function fft_rtc_back_len3125_factors_5_5_5_5_5_wgs_125_tpt_125_halfLds_half_ip_CI_sbrr_dirReg
	.globl	fft_rtc_back_len3125_factors_5_5_5_5_5_wgs_125_tpt_125_halfLds_half_ip_CI_sbrr_dirReg
	.p2align	8
	.type	fft_rtc_back_len3125_factors_5_5_5_5_5_wgs_125_tpt_125_halfLds_half_ip_CI_sbrr_dirReg,@function
fft_rtc_back_len3125_factors_5_5_5_5_5_wgs_125_tpt_125_halfLds_half_ip_CI_sbrr_dirReg: ; @fft_rtc_back_len3125_factors_5_5_5_5_5_wgs_125_tpt_125_halfLds_half_ip_CI_sbrr_dirReg
; %bb.0:
	s_load_dwordx2 s[12:13], s[0:1], 0x18
	s_load_dwordx4 s[4:7], s[0:1], 0x0
	s_load_dwordx2 s[10:11], s[0:1], 0x50
	v_mul_u32_u24_e32 v1, 0x20d, v0
	v_add_u32_sdwa v6, s2, v1 dst_sel:DWORD dst_unused:UNUSED_PAD src0_sel:DWORD src1_sel:WORD_1
	s_waitcnt lgkmcnt(0)
	s_load_dwordx2 s[8:9], s[12:13], 0x0
	v_mov_b32_e32 v4, 0
	v_cmp_lt_u64_e64 s[2:3], s[6:7], 2
	v_mov_b32_e32 v7, v4
	s_and_b64 vcc, exec, s[2:3]
	v_mov_b64_e32 v[2:3], 0
	s_cbranch_vccnz .LBB0_8
; %bb.1:
	s_load_dwordx2 s[2:3], s[0:1], 0x10
	s_add_u32 s14, s12, 8
	s_addc_u32 s15, s13, 0
	s_mov_b64 s[16:17], 1
	v_mov_b64_e32 v[2:3], 0
	s_waitcnt lgkmcnt(0)
	s_add_u32 s18, s2, 8
	s_addc_u32 s19, s3, 0
.LBB0_2:                                ; =>This Inner Loop Header: Depth=1
	s_load_dwordx2 s[20:21], s[18:19], 0x0
                                        ; implicit-def: $vgpr8_vgpr9
	s_waitcnt lgkmcnt(0)
	v_or_b32_e32 v5, s21, v7
	v_cmp_ne_u64_e32 vcc, 0, v[4:5]
	s_and_saveexec_b64 s[2:3], vcc
	s_xor_b64 s[22:23], exec, s[2:3]
	s_cbranch_execz .LBB0_4
; %bb.3:                                ;   in Loop: Header=BB0_2 Depth=1
	v_cvt_f32_u32_e32 v1, s20
	v_cvt_f32_u32_e32 v5, s21
	s_sub_u32 s2, 0, s20
	s_subb_u32 s3, 0, s21
	v_fmac_f32_e32 v1, 0x4f800000, v5
	v_rcp_f32_e32 v1, v1
	s_nop 0
	v_mul_f32_e32 v1, 0x5f7ffffc, v1
	v_mul_f32_e32 v5, 0x2f800000, v1
	v_trunc_f32_e32 v5, v5
	v_fmac_f32_e32 v1, 0xcf800000, v5
	v_cvt_u32_f32_e32 v5, v5
	v_cvt_u32_f32_e32 v1, v1
	v_mul_lo_u32 v8, s2, v5
	v_mul_hi_u32 v10, s2, v1
	v_mul_lo_u32 v9, s3, v1
	v_add_u32_e32 v10, v10, v8
	v_mul_lo_u32 v12, s2, v1
	v_add_u32_e32 v13, v10, v9
	v_mul_hi_u32 v8, v1, v12
	v_mul_hi_u32 v11, v1, v13
	v_mul_lo_u32 v10, v1, v13
	v_mov_b32_e32 v9, v4
	v_lshl_add_u64 v[8:9], v[8:9], 0, v[10:11]
	v_mul_hi_u32 v11, v5, v12
	v_mul_lo_u32 v12, v5, v12
	v_add_co_u32_e32 v8, vcc, v8, v12
	v_mul_hi_u32 v10, v5, v13
	s_nop 0
	v_addc_co_u32_e32 v8, vcc, v9, v11, vcc
	v_mov_b32_e32 v9, v4
	s_nop 0
	v_addc_co_u32_e32 v11, vcc, 0, v10, vcc
	v_mul_lo_u32 v10, v5, v13
	v_lshl_add_u64 v[8:9], v[8:9], 0, v[10:11]
	v_add_co_u32_e32 v1, vcc, v1, v8
	v_mul_lo_u32 v10, s2, v1
	s_nop 0
	v_addc_co_u32_e32 v5, vcc, v5, v9, vcc
	v_mul_lo_u32 v8, s2, v5
	v_mul_hi_u32 v9, s2, v1
	v_add_u32_e32 v8, v9, v8
	v_mul_lo_u32 v9, s3, v1
	v_add_u32_e32 v12, v8, v9
	v_mul_hi_u32 v14, v5, v10
	v_mul_lo_u32 v15, v5, v10
	v_mul_hi_u32 v9, v1, v12
	v_mul_lo_u32 v8, v1, v12
	v_mul_hi_u32 v10, v1, v10
	v_mov_b32_e32 v11, v4
	v_lshl_add_u64 v[8:9], v[10:11], 0, v[8:9]
	v_add_co_u32_e32 v8, vcc, v8, v15
	v_mul_hi_u32 v13, v5, v12
	s_nop 0
	v_addc_co_u32_e32 v8, vcc, v9, v14, vcc
	v_mul_lo_u32 v10, v5, v12
	s_nop 0
	v_addc_co_u32_e32 v11, vcc, 0, v13, vcc
	v_mov_b32_e32 v9, v4
	v_lshl_add_u64 v[8:9], v[8:9], 0, v[10:11]
	v_add_co_u32_e32 v1, vcc, v1, v8
	v_mul_hi_u32 v10, v6, v1
	s_nop 0
	v_addc_co_u32_e32 v5, vcc, v5, v9, vcc
	v_mad_u64_u32 v[8:9], s[2:3], v6, v5, 0
	v_mov_b32_e32 v11, v4
	v_lshl_add_u64 v[8:9], v[10:11], 0, v[8:9]
	v_mad_u64_u32 v[12:13], s[2:3], v7, v1, 0
	v_add_co_u32_e32 v1, vcc, v8, v12
	v_mad_u64_u32 v[10:11], s[2:3], v7, v5, 0
	s_nop 0
	v_addc_co_u32_e32 v8, vcc, v9, v13, vcc
	v_mov_b32_e32 v9, v4
	s_nop 0
	v_addc_co_u32_e32 v11, vcc, 0, v11, vcc
	v_lshl_add_u64 v[8:9], v[8:9], 0, v[10:11]
	v_mul_lo_u32 v1, s21, v8
	v_mul_lo_u32 v5, s20, v9
	v_mad_u64_u32 v[10:11], s[2:3], s20, v8, 0
	v_add3_u32 v1, v11, v5, v1
	v_sub_u32_e32 v5, v7, v1
	v_mov_b32_e32 v11, s21
	v_sub_co_u32_e32 v14, vcc, v6, v10
	v_lshl_add_u64 v[12:13], v[8:9], 0, 1
	s_nop 0
	v_subb_co_u32_e64 v5, s[2:3], v5, v11, vcc
	v_subrev_co_u32_e64 v10, s[2:3], s20, v14
	v_subb_co_u32_e32 v1, vcc, v7, v1, vcc
	s_nop 0
	v_subbrev_co_u32_e64 v5, s[2:3], 0, v5, s[2:3]
	v_cmp_le_u32_e64 s[2:3], s21, v5
	v_cmp_le_u32_e32 vcc, s21, v1
	s_nop 0
	v_cndmask_b32_e64 v11, 0, -1, s[2:3]
	v_cmp_le_u32_e64 s[2:3], s20, v10
	s_nop 1
	v_cndmask_b32_e64 v10, 0, -1, s[2:3]
	v_cmp_eq_u32_e64 s[2:3], s21, v5
	s_nop 1
	v_cndmask_b32_e64 v5, v11, v10, s[2:3]
	v_lshl_add_u64 v[10:11], v[8:9], 0, 2
	v_cmp_ne_u32_e64 s[2:3], 0, v5
	s_nop 1
	v_cndmask_b32_e64 v5, v13, v11, s[2:3]
	v_cndmask_b32_e64 v11, 0, -1, vcc
	v_cmp_le_u32_e32 vcc, s20, v14
	s_nop 1
	v_cndmask_b32_e64 v13, 0, -1, vcc
	v_cmp_eq_u32_e32 vcc, s21, v1
	s_nop 1
	v_cndmask_b32_e32 v1, v11, v13, vcc
	v_cmp_ne_u32_e32 vcc, 0, v1
	v_cndmask_b32_e64 v1, v12, v10, s[2:3]
	s_nop 0
	v_cndmask_b32_e32 v9, v9, v5, vcc
	v_cndmask_b32_e32 v8, v8, v1, vcc
.LBB0_4:                                ;   in Loop: Header=BB0_2 Depth=1
	s_andn2_saveexec_b64 s[2:3], s[22:23]
	s_cbranch_execz .LBB0_6
; %bb.5:                                ;   in Loop: Header=BB0_2 Depth=1
	v_cvt_f32_u32_e32 v1, s20
	s_sub_i32 s22, 0, s20
	v_rcp_iflag_f32_e32 v1, v1
	s_nop 0
	v_mul_f32_e32 v1, 0x4f7ffffe, v1
	v_cvt_u32_f32_e32 v1, v1
	v_mul_lo_u32 v5, s22, v1
	v_mul_hi_u32 v5, v1, v5
	v_add_u32_e32 v1, v1, v5
	v_mul_hi_u32 v1, v6, v1
	v_mul_lo_u32 v5, v1, s20
	v_sub_u32_e32 v5, v6, v5
	v_add_u32_e32 v8, 1, v1
	v_subrev_u32_e32 v9, s20, v5
	v_cmp_le_u32_e32 vcc, s20, v5
	s_nop 1
	v_cndmask_b32_e32 v5, v5, v9, vcc
	v_cndmask_b32_e32 v1, v1, v8, vcc
	v_add_u32_e32 v8, 1, v1
	v_cmp_le_u32_e32 vcc, s20, v5
	v_mov_b32_e32 v9, v4
	s_nop 0
	v_cndmask_b32_e32 v8, v1, v8, vcc
.LBB0_6:                                ;   in Loop: Header=BB0_2 Depth=1
	s_or_b64 exec, exec, s[2:3]
	v_mad_u64_u32 v[10:11], s[2:3], v8, s20, 0
	s_load_dwordx2 s[2:3], s[14:15], 0x0
	v_mul_lo_u32 v1, v9, s20
	v_mul_lo_u32 v5, v8, s21
	v_add3_u32 v1, v11, v5, v1
	v_sub_co_u32_e32 v5, vcc, v6, v10
	s_add_u32 s16, s16, 1
	s_nop 0
	v_subb_co_u32_e32 v1, vcc, v7, v1, vcc
	s_addc_u32 s17, s17, 0
	s_waitcnt lgkmcnt(0)
	v_mul_lo_u32 v1, s2, v1
	v_mul_lo_u32 v6, s3, v5
	v_mad_u64_u32 v[2:3], s[2:3], s2, v5, v[2:3]
	s_add_u32 s14, s14, 8
	v_add3_u32 v3, v6, v3, v1
	s_addc_u32 s15, s15, 0
	v_mov_b64_e32 v[6:7], s[6:7]
	s_add_u32 s18, s18, 8
	v_cmp_ge_u64_e32 vcc, s[16:17], v[6:7]
	s_addc_u32 s19, s19, 0
	s_cbranch_vccnz .LBB0_9
; %bb.7:                                ;   in Loop: Header=BB0_2 Depth=1
	v_mov_b64_e32 v[6:7], v[8:9]
	s_branch .LBB0_2
.LBB0_8:
	v_mov_b64_e32 v[8:9], v[6:7]
.LBB0_9:
	s_lshl_b64 s[2:3], s[6:7], 3
	s_add_u32 s2, s12, s2
	s_addc_u32 s3, s13, s3
	s_load_dwordx2 s[6:7], s[2:3], 0x0
	s_load_dwordx2 s[12:13], s[0:1], 0x20
	s_mov_b32 s2, 0x20c49bb
                                        ; implicit-def: $vgpr22_vgpr23
                                        ; implicit-def: $vgpr25
                                        ; implicit-def: $vgpr26
	s_waitcnt lgkmcnt(0)
	v_mul_lo_u32 v1, s6, v9
	v_mul_lo_u32 v4, s7, v8
	v_mad_u64_u32 v[2:3], s[0:1], s6, v8, v[2:3]
	v_add3_u32 v3, v4, v3, v1
	v_mul_hi_u32 v1, v0, s2
	v_mul_u32_u24_e32 v1, 0x7d, v1
	v_cmp_gt_u64_e32 vcc, s[12:13], v[8:9]
	v_cmp_le_u64_e64 s[0:1], s[12:13], v[8:9]
	v_sub_u32_e32 v24, v0, v1
	s_and_saveexec_b64 s[2:3], s[0:1]
	s_xor_b64 s[0:1], exec, s[2:3]
; %bb.10:
	v_add_u32_e32 v25, 0x7d, v24
	v_add_u32_e32 v23, 0x177, v24
	v_add_u32_e32 v22, 0xfa, v24
	v_add_u32_e32 v26, 0x1f4, v24
; %bb.11:
	s_or_saveexec_b64 s[0:1], s[0:1]
	v_lshl_add_u64 v[20:21], v[2:3], 2, s[10:11]
                                        ; implicit-def: $vgpr12
                                        ; implicit-def: $vgpr11
                                        ; implicit-def: $vgpr13
                                        ; implicit-def: $vgpr6
                                        ; implicit-def: $vgpr14
                                        ; implicit-def: $vgpr7
                                        ; implicit-def: $vgpr15
                                        ; implicit-def: $vgpr8
                                        ; implicit-def: $vgpr16
                                        ; implicit-def: $vgpr31
                                        ; implicit-def: $vgpr57
                                        ; implicit-def: $vgpr17
                                        ; implicit-def: $vgpr58
                                        ; implicit-def: $vgpr18
                                        ; implicit-def: $vgpr62
                                        ; implicit-def: $vgpr19
                                        ; implicit-def: $vgpr63
                                        ; implicit-def: $vgpr40
                                        ; implicit-def: $vgpr67
                                        ; implicit-def: $vgpr28
                                        ; implicit-def: $vgpr68
                                        ; implicit-def: $vgpr2
                                        ; implicit-def: $vgpr69
                                        ; implicit-def: $vgpr3
                                        ; implicit-def: $vgpr70
                                        ; implicit-def: $vgpr4
                                        ; implicit-def: $vgpr71
                                        ; implicit-def: $vgpr5
                                        ; implicit-def: $vgpr72
                                        ; implicit-def: $vgpr29
                                        ; implicit-def: $vgpr73
                                        ; implicit-def: $vgpr9
                                        ; implicit-def: $vgpr74
                                        ; implicit-def: $vgpr10
                                        ; implicit-def: $vgpr75
                                        ; implicit-def: $vgpr0
                                        ; implicit-def: $vgpr76
                                        ; implicit-def: $vgpr1
                                        ; implicit-def: $vgpr77
                                        ; implicit-def: $vgpr27
                                        ; implicit-def: $vgpr36
                                        ; implicit-def: $vgpr32
                                        ; implicit-def: $vgpr37
                                        ; implicit-def: $vgpr30
                                        ; implicit-def: $vgpr38
                                        ; implicit-def: $vgpr33
                                        ; implicit-def: $vgpr39
                                        ; implicit-def: $vgpr34
                                        ; implicit-def: $vgpr41
                                        ; implicit-def: $vgpr35
	s_xor_b64 exec, exec, s[0:1]
	s_cbranch_execz .LBB0_13
; %bb.12:
	v_mad_u64_u32 v[0:1], s[2:3], s8, v24, 0
	v_mov_b32_e32 v2, v1
	v_mad_u64_u32 v[2:3], s[2:3], s9, v24, v[2:3]
	v_mov_b32_e32 v1, v2
	v_add_u32_e32 v5, 0x271, v24
	v_lshl_add_u64 v[2:3], v[0:1], 2, v[20:21]
	v_mad_u64_u32 v[0:1], s[2:3], s8, v5, 0
	v_mov_b32_e32 v4, v1
	v_mad_u64_u32 v[4:5], s[2:3], s9, v5, v[4:5]
	v_mov_b32_e32 v1, v4
	v_add_u32_e32 v7, 0x4e2, v24
	v_lshl_add_u64 v[4:5], v[0:1], 2, v[20:21]
	;; [unrolled: 6-line block ×7, first 2 shown]
	v_mad_u64_u32 v[0:1], s[2:3], s8, v17, 0
	v_mov_b32_e32 v16, v1
	v_mad_u64_u32 v[16:17], s[2:3], s9, v17, v[16:17]
	v_mov_b32_e32 v1, v16
	v_lshl_add_u64 v[16:17], v[0:1], 2, v[20:21]
	global_load_dword v35, v[2:3], off
	global_load_dword v34, v[4:5], off
	;; [unrolled: 1-line block ×8, first 2 shown]
	v_add_u32_e32 v5, 0x7d0, v24
	v_mad_u64_u32 v[2:3], s[2:3], s8, v5, 0
	v_mov_b32_e32 v4, v3
	v_mad_u64_u32 v[4:5], s[2:3], s9, v5, v[4:5]
	v_mov_b32_e32 v3, v4
	v_add_u32_e32 v5, 0xa41, v24
	v_lshl_add_u64 v[6:7], v[2:3], 2, v[20:21]
	v_mad_u64_u32 v[2:3], s[2:3], s8, v5, 0
	v_mov_b32_e32 v4, v3
	v_mad_u64_u32 v[4:5], s[2:3], s9, v5, v[4:5]
	v_mov_b32_e32 v3, v4
	v_add_u32_e32 v22, 0xfa, v24
	v_lshl_add_u64 v[12:13], v[2:3], 2, v[20:21]
	;; [unrolled: 6-line block ×6, first 2 shown]
	v_mad_u64_u32 v[2:3], s[2:3], s8, v5, 0
	v_mov_b32_e32 v4, v3
	v_mad_u64_u32 v[4:5], s[2:3], s9, v5, v[4:5]
	v_add_u32_e32 v23, 0x177, v24
	v_mov_b32_e32 v3, v4
	v_lshl_add_u64 v[38:39], v[2:3], 2, v[20:21]
	v_mad_u64_u32 v[2:3], s[2:3], s8, v23, 0
	v_mov_b32_e32 v4, v3
	v_mad_u64_u32 v[4:5], s[2:3], s9, v23, v[4:5]
	v_mov_b32_e32 v3, v4
	v_lshl_add_u64 v[40:41], v[2:3], 2, v[20:21]
	global_load_dword v10, v[6:7], off
	global_load_dword v9, v[12:13], off
	;; [unrolled: 1-line block ×8, first 2 shown]
	v_add_u32_e32 v11, 0x3e8, v24
	v_mad_u64_u32 v[6:7], s[2:3], s8, v11, 0
	v_mov_b32_e32 v8, v7
	v_add_u32_e32 v26, 0x1f4, v24
	s_waitcnt vmcnt(15)
	v_lshrrev_b32_e32 v41, 16, v35
	s_waitcnt vmcnt(10)
	v_lshrrev_b32_e32 v77, 16, v27
	;; [unrolled: 2-line block ×5, first 2 shown]
	s_waitcnt vmcnt(6)
	v_mad_u64_u32 v[12:13], s[2:3], s9, v11, v[8:9]
	v_mov_b32_e32 v7, v12
	v_add_u32_e32 v11, 0x659, v24
	v_lshl_add_u64 v[12:13], v[6:7], 2, v[20:21]
	v_mad_u64_u32 v[6:7], s[2:3], s8, v11, 0
	v_mov_b32_e32 v8, v7
	v_mad_u64_u32 v[14:15], s[2:3], s9, v11, v[8:9]
	v_mov_b32_e32 v7, v14
	v_add_u32_e32 v11, 0x8ca, v24
	v_lshl_add_u64 v[14:15], v[6:7], 2, v[20:21]
	v_mad_u64_u32 v[6:7], s[2:3], s8, v11, 0
	v_mov_b32_e32 v8, v7
	;; [unrolled: 6-line block ×3, first 2 shown]
	v_mad_u64_u32 v[16:17], s[2:3], s9, v11, v[8:9]
	v_mov_b32_e32 v7, v16
	v_lshl_add_u64 v[38:39], v[6:7], 2, v[20:21]
	v_mad_u64_u32 v[6:7], s[2:3], s8, v26, 0
	v_mov_b32_e32 v8, v7
	v_mad_u64_u32 v[16:17], s[2:3], s9, v26, v[8:9]
	v_mov_b32_e32 v7, v16
	v_add_u32_e32 v11, 0x465, v24
	v_lshl_add_u64 v[42:43], v[6:7], 2, v[20:21]
	v_mad_u64_u32 v[6:7], s[2:3], s8, v11, 0
	v_mov_b32_e32 v8, v7
	v_mad_u64_u32 v[16:17], s[2:3], s9, v11, v[8:9]
	v_mov_b32_e32 v7, v16
	v_add_u32_e32 v11, 0x6d6, v24
	;; [unrolled: 6-line block ×4, first 2 shown]
	v_lshl_add_u64 v[48:49], v[6:7], 2, v[20:21]
	global_load_dword v40, v[12:13], off
	global_load_dword v19, v[14:15], off
	;; [unrolled: 1-line block ×8, first 2 shown]
	v_mad_u64_u32 v[12:13], s[2:3], s8, v11, 0
	v_mov_b32_e32 v14, v13
	v_mad_u64_u32 v[14:15], s[2:3], s9, v11, v[14:15]
	v_mov_b32_e32 v13, v14
	v_lshl_add_u64 v[12:13], v[12:13], 2, v[20:21]
	global_load_dword v11, v[12:13], off
	v_lshrrev_b32_e32 v39, 16, v34
	v_lshrrev_b32_e32 v38, 16, v33
	;; [unrolled: 1-line block ×5, first 2 shown]
	s_waitcnt vmcnt(14)
	v_lshrrev_b32_e32 v72, 16, v29
	s_waitcnt vmcnt(13)
	v_lshrrev_b32_e32 v71, 16, v5
	;; [unrolled: 2-line block ×15, first 2 shown]
.LBB0_13:
	s_or_b64 exec, exec, s[0:1]
	v_add_f16_e32 v42, v30, v33
	v_fma_f16 v42, v42, -0.5, v35
	v_sub_f16_e32 v43, v39, v36
	s_mov_b32 s0, 0xbb9c
	v_sub_f16_e32 v45, v34, v33
	v_sub_f16_e32 v46, v32, v30
	s_movk_i32 s3, 0x3b9c
	v_fma_f16 v44, v43, s0, v42
	v_add_f16_e32 v45, v46, v45
	v_sub_f16_e32 v46, v38, v37
	s_mov_b32 s1, 0xb8b4
	v_fma_f16 v42, v43, s3, v42
	s_movk_i32 s6, 0x38b4
	v_fma_f16 v44, v46, s1, v44
	s_movk_i32 s2, 0x34f2
	v_fma_f16 v42, v46, s6, v42
	v_fma_f16 v44, v45, s2, v44
	v_fma_f16 v42, v45, s2, v42
	v_sub_f16_e32 v45, v33, v34
	v_sub_f16_e32 v47, v30, v32
	v_add_f16_e32 v45, v47, v45
	v_add_f16_e32 v47, v32, v34
	v_fma_f16 v47, v47, -0.5, v35
	v_add_f16_e32 v35, v34, v35
	v_add_f16_e32 v35, v33, v35
	;; [unrolled: 1-line block ×4, first 2 shown]
	v_sub_f16_e32 v82, v34, v32
	v_sub_f16_e32 v83, v33, v30
	;; [unrolled: 1-line block ×4, first 2 shown]
	v_add_f16_e32 v84, v32, v30
	v_add_f16_e32 v30, v37, v38
	;; [unrolled: 1-line block ×3, first 2 shown]
	v_fma_f16 v85, v30, -0.5, v41
	v_add_f16_e32 v30, v36, v39
	v_add_f16_e32 v32, v38, v32
	v_fma_f16 v30, v30, -0.5, v41
	v_add_f16_e32 v32, v37, v32
	v_fma_f16 v48, v46, s3, v47
	v_fma_f16 v46, v46, s0, v47
	v_sub_f16_e32 v33, v38, v39
	v_add_f16_e32 v38, v36, v32
	v_sub_f16_e32 v32, v37, v36
	v_fma_f16 v36, v83, s0, v30
	v_fma_f16 v30, v83, s3, v30
	;; [unrolled: 1-line block ×5, first 2 shown]
	v_add_f16_e32 v32, v32, v33
	v_fma_f16 v30, v82, s1, v30
	v_mul_f16_e32 v34, 0x34f2, v45
	v_fma_f16 v39, v32, s2, v36
	v_fma_f16 v41, v32, s2, v30
	v_pack_b32_f16 v32, v47, v43
	v_add_f16_e32 v30, v10, v0
	v_pk_add_f16 v33, v34, v32 op_sel_hi:[0,1]
	v_pack_b32_f16 v32, v35, v44
	v_mad_u32_u24 v86, v24, 10, 0
	v_fma_f16 v30, v30, -0.5, v27
	v_sub_f16_e32 v36, v76, v73
	v_sub_f16_e32 v34, v1, v0
	;; [unrolled: 1-line block ×3, first 2 shown]
	ds_write_b64 v86, v[32:33]
	v_sub_f16_e32 v32, v0, v1
	v_sub_f16_e32 v33, v10, v9
	v_fma_f16 v37, v36, s0, v30
	v_add_f16_e32 v34, v35, v34
	v_sub_f16_e32 v35, v75, v74
	v_fma_f16 v30, v36, s3, v30
	v_add_f16_e32 v32, v33, v32
	v_add_f16_e32 v33, v9, v1
	v_fma_f16 v37, v35, s1, v37
	v_fma_f16 v30, v35, s6, v30
	v_fma_f16 v33, v33, -0.5, v27
	v_add_f16_e32 v27, v1, v27
	v_fma_f16 v37, v34, s2, v37
	v_fma_f16 v30, v34, s2, v30
	;; [unrolled: 1-line block ×4, first 2 shown]
	v_add_f16_e32 v27, v0, v27
	v_add_f16_e32 v27, v10, v27
	v_fma_f16 v34, v36, s1, v34
	v_fma_f16 v33, v36, s6, v33
	v_add_f16_e32 v27, v9, v27
	v_mul_f16_e32 v32, 0x34f2, v32
	v_add_f16_e32 v35, v3, v4
	v_pack_b32_f16 v33, v34, v33
	v_fma_f16 v35, v35, -0.5, v29
	v_sub_f16_e32 v34, v71, v68
	v_pk_add_f16 v33, v32, v33 op_sel_hi:[0,1]
	v_pack_b32_f16 v32, v27, v37
	v_sub_f16_e32 v27, v5, v4
	v_sub_f16_e32 v36, v2, v3
	v_add_f16_e32 v27, v36, v27
	v_fma_f16 v36, v34, s0, v35
	v_sub_f16_e32 v37, v70, v69
	v_fma_f16 v35, v34, s3, v35
	v_fma_f16 v36, v37, s1, v36
	v_fma_f16 v35, v37, s6, v35
	v_fma_f16 v36, v27, s2, v36
	v_fma_f16 v35, v27, s2, v35
	v_mad_i32_i24 v27, v25, 10, 0
	ds_write_b16 v86, v42 offset:8
	ds_write_b64 v27, v[32:33]
	v_sub_f16_e32 v32, v4, v5
	v_sub_f16_e32 v33, v3, v2
	v_add_f16_e32 v32, v33, v32
	v_add_f16_e32 v33, v2, v5
	v_fma_f16 v33, v33, -0.5, v29
	v_add_f16_e32 v29, v5, v29
	v_fma_f16 v42, v37, s3, v33
	v_fma_f16 v33, v37, s0, v33
	v_add_f16_e32 v29, v4, v29
	v_add_f16_e32 v29, v3, v29
	v_fma_f16 v37, v34, s1, v42
	v_fma_f16 v33, v34, s6, v33
	v_add_f16_e32 v29, v2, v29
	v_mul_f16_e32 v32, 0x34f2, v32
	v_add_f16_e32 v34, v18, v19
	v_pack_b32_f16 v33, v37, v33
	v_fma_f16 v34, v34, -0.5, v28
	v_sub_f16_e32 v37, v63, v57
	v_pk_add_f16 v33, v32, v33 op_sel_hi:[0,1]
	v_pack_b32_f16 v32, v29, v36
	v_sub_f16_e32 v29, v40, v19
	v_sub_f16_e32 v36, v17, v18
	v_add_f16_e32 v29, v36, v29
	v_fma_f16 v36, v37, s0, v34
	v_sub_f16_e32 v42, v62, v58
	v_fma_f16 v34, v37, s3, v34
	v_fma_f16 v36, v42, s1, v36
	v_fma_f16 v34, v42, s6, v34
	v_fma_f16 v36, v29, s2, v36
	v_fma_f16 v34, v29, s2, v34
	v_mad_i32_i24 v29, v22, 10, 0
	ds_write_b16 v27, v30 offset:8
	ds_write_b64 v29, v[32:33]
	v_sub_f16_e32 v30, v19, v40
	v_sub_f16_e32 v32, v18, v17
	v_add_f16_e32 v30, v32, v30
	v_add_f16_e32 v32, v17, v40
	v_fma_f16 v32, v32, -0.5, v28
	v_add_f16_e32 v28, v40, v28
	v_fma_f16 v33, v42, s3, v32
	v_fma_f16 v32, v42, s0, v32
	;; [unrolled: 33-line block ×3, first 2 shown]
	v_fma_f16 v36, v82, s3, v85
	v_add_f16_e32 v31, v7, v31
	v_fma_f16 v35, v42, s1, v35
	v_fma_f16 v33, v42, s6, v33
	;; [unrolled: 1-line block ×3, first 2 shown]
	v_add_f16_e32 v31, v6, v31
	v_fma_f16 v42, v84, s2, v36
	v_add_f16_e32 v36, v11, v31
	v_mul_f16_e32 v32, 0x34f2, v32
	v_pack_b32_f16 v33, v35, v33
	ds_write_b16 v30, v34 offset:8
	v_mad_i32_i24 v31, v26, 10, 0
	v_pk_add_f16 v33, v32, v33 op_sel_hi:[0,1]
	v_pack_b32_f16 v32, v36, v43
	v_lshlrev_b32_e32 v34, 3, v23
	v_lshlrev_b32_e32 v35, 3, v26
	ds_write_b64 v31, v[32:33]
	ds_write_b16 v31, v28 offset:8
	v_lshlrev_b32_e32 v28, 3, v24
	v_lshlrev_b32_e32 v32, 3, v25
	v_lshlrev_b32_e32 v33, 3, v22
	v_pack_b32_f16 v81, v39, v41
	v_pack_b32_f16 v80, v38, v42
	v_sub_u32_e32 v38, v30, v34
	v_sub_u32_e32 v39, v31, v35
	s_waitcnt lgkmcnt(0)
	s_barrier
	v_sub_u32_e32 v28, v86, v28
	v_sub_u32_e32 v36, v27, v32
	;; [unrolled: 1-line block ×3, first 2 shown]
	ds_read_u16 v42, v38
	ds_read_u16 v41, v28
	ds_read_u16 v78, v28 offset:1250
	ds_read_u16 v61, v28 offset:1500
	ds_read_u16 v56, v28 offset:1750
	ds_read_u16 v52, v28 offset:2000
	ds_read_u16 v55, v28 offset:3000
	ds_read_u16 v50, v28 offset:3250
	ds_read_u16 v65, v28 offset:5000
	ds_read_u16 v60, v28 offset:5250
	ds_read_u16 v54, v28 offset:5500
	ds_read_u16 v47, v28 offset:5750
	ds_read_u16 v43, v39
	ds_read_u16 v64, v28 offset:2750
	ds_read_u16 v87, v28 offset:2500
	;; [unrolled: 1-line block ×9, first 2 shown]
	ds_read_u16 v44, v37
	ds_read_u16 v45, v36
	ds_read_u16 v48, v28 offset:6000
	s_waitcnt lgkmcnt(0)
	s_barrier
	ds_write_b64 v86, v[80:81]
	v_fma_f16 v80, v82, s0, v85
	v_fma_f16 v80, v83, s1, v80
	;; [unrolled: 1-line block ×3, first 2 shown]
	v_sub_f16_e32 v9, v1, v9
	v_sub_f16_e32 v10, v0, v10
	;; [unrolled: 1-line block ×4, first 2 shown]
	ds_write_b16 v86, v80 offset:8
	v_add_f16_e32 v80, v1, v0
	v_add_f16_e32 v0, v74, v75
	;; [unrolled: 1-line block ×3, first 2 shown]
	v_fma_f16 v81, v0, -0.5, v77
	v_add_f16_e32 v0, v73, v76
	v_add_f16_e32 v1, v75, v1
	v_fma_f16 v0, v0, -0.5, v77
	v_add_f16_e32 v1, v74, v1
	v_sub_f16_e32 v75, v75, v76
	v_add_f16_e32 v76, v73, v1
	v_sub_f16_e32 v1, v74, v73
	v_fma_f16 v73, v10, s0, v0
	v_fma_f16 v0, v10, s3, v0
	v_add_f16_e32 v1, v1, v75
	v_fma_f16 v73, v9, s6, v73
	v_fma_f16 v0, v9, s1, v0
	;; [unrolled: 1-line block ×7, first 2 shown]
	v_pack_b32_f16 v1, v73, v0
	v_pack_b32_f16 v0, v76, v74
	ds_write_b64 v27, v[0:1]
	v_sub_f16_e32 v1, v5, v2
	v_sub_f16_e32 v2, v4, v3
	;; [unrolled: 1-line block ×4, first 2 shown]
	v_add_f16_e32 v3, v4, v3
	v_add_f16_e32 v4, v69, v70
	v_fma_f16 v4, v4, -0.5, v72
	v_fma_f16 v0, v9, s0, v81
	v_fma_f16 v5, v1, s3, v4
	;; [unrolled: 1-line block ×3, first 2 shown]
	v_add_f16_e32 v9, v71, v72
	v_fma_f16 v5, v2, s6, v5
	v_fma_f16 v4, v2, s1, v4
	v_add_f16_e32 v9, v70, v9
	v_fma_f16 v5, v3, s2, v5
	v_fma_f16 v3, v3, s2, v4
	v_add_f16_e32 v4, v68, v71
	v_add_f16_e32 v9, v69, v9
	v_fma_f16 v0, v10, s1, v0
	v_fma_f16 v4, v4, -0.5, v72
	v_sub_f16_e32 v10, v70, v71
	v_add_f16_e32 v9, v68, v9
	v_sub_f16_e32 v68, v69, v68
	v_add_f16_e32 v10, v68, v10
	v_fma_f16 v68, v2, s0, v4
	v_fma_f16 v2, v2, s3, v4
	;; [unrolled: 1-line block ×6, first 2 shown]
	v_sub_f16_e32 v4, v40, v17
	v_sub_f16_e32 v10, v19, v18
	;; [unrolled: 1-line block ×4, first 2 shown]
	v_add_f16_e32 v17, v18, v17
	v_add_f16_e32 v18, v58, v62
	v_fma_f16 v18, v18, -0.5, v67
	v_fma_f16 v19, v4, s3, v18
	v_fma_f16 v18, v4, s0, v18
	;; [unrolled: 1-line block ×4, first 2 shown]
	v_add_f16_e32 v40, v63, v67
	v_fma_f16 v19, v17, s2, v19
	v_fma_f16 v17, v17, s2, v18
	v_add_f16_e32 v18, v57, v63
	v_add_f16_e32 v40, v62, v40
	v_fma_f16 v18, v18, -0.5, v67
	v_add_f16_e32 v40, v58, v40
	v_sub_f16_e32 v8, v8, v11
	v_sub_f16_e32 v6, v7, v6
	;; [unrolled: 1-line block ×5, first 2 shown]
	v_add_f16_e32 v40, v57, v40
	v_sub_f16_e32 v57, v58, v57
	v_fma_f16 v58, v10, s0, v18
	v_add_f16_e32 v7, v11, v7
	v_add_f16_e32 v11, v13, v14
	;; [unrolled: 1-line block ×3, first 2 shown]
	v_fma_f16 v10, v10, s3, v18
	v_fma_f16 v18, v4, s6, v58
	v_fma_f16 v11, v11, -0.5, v16
	v_fma_f16 v4, v4, s1, v10
	v_fma_f16 v10, v57, s2, v18
	;; [unrolled: 1-line block ×8, first 2 shown]
	v_add_f16_e32 v11, v12, v15
	v_fma_f16 v11, v11, -0.5, v16
	v_add_f16_e32 v16, v15, v16
	v_add_f16_e32 v16, v14, v16
	v_sub_f16_e32 v14, v14, v15
	v_add_f16_e32 v15, v13, v16
	v_fma_f16 v0, v80, s2, v0
	v_add_f16_e32 v15, v12, v15
	v_sub_f16_e32 v12, v13, v12
	v_fma_f16 v13, v6, s0, v11
	v_fma_f16 v6, v6, s3, v11
	;; [unrolled: 1-line block ×3, first 2 shown]
	v_add_f16_e32 v12, v12, v14
	v_fma_f16 v11, v8, s6, v13
	v_fma_f16 v6, v8, s1, v6
	ds_write_b16 v27, v0 offset:8
	v_pack_b32_f16 v1, v2, v1
	v_pack_b32_f16 v0, v9, v5
	v_fma_f16 v8, v12, s2, v11
	v_fma_f16 v6, v12, s2, v6
	ds_write_b64 v29, v[0:1]
	ds_write_b16 v29, v3 offset:8
	v_pack_b32_f16 v1, v10, v4
	v_pack_b32_f16 v0, v40, v19
	ds_write_b64 v30, v[0:1]
	ds_write_b16 v30, v17 offset:8
	v_pack_b32_f16 v1, v8, v6
	v_pack_b32_f16 v0, v15, v18
	s_movk_i32 s7, 0xcd
	ds_write_b64 v31, v[0:1]
	ds_write_b16 v31, v7 offset:8
	v_mul_lo_u16_sdwa v0, v24, s7 dst_sel:DWORD dst_unused:UNUSED_PAD src0_sel:BYTE_0 src1_sel:DWORD
	v_lshrrev_b16_e32 v57, 10, v0
	v_mul_lo_u16_e32 v0, 5, v57
	v_sub_u16_e32 v58, v24, v0
	v_mov_b32_e32 v40, 4
	v_lshlrev_b32_sdwa v0, v40, v58 dst_sel:DWORD dst_unused:UNUSED_PAD src0_sel:DWORD src1_sel:BYTE_0
	s_waitcnt lgkmcnt(0)
	s_barrier
	global_load_dwordx4 v[0:3], v0, s[4:5]
	v_mul_lo_u16_sdwa v4, v25, s7 dst_sel:DWORD dst_unused:UNUSED_PAD src0_sel:BYTE_0 src1_sel:DWORD
	v_lshrrev_b16_e32 v62, 10, v4
	v_mul_lo_u16_e32 v4, 5, v62
	v_sub_u16_e32 v63, v25, v4
	v_lshlrev_b32_sdwa v4, v40, v63 dst_sel:DWORD dst_unused:UNUSED_PAD src0_sel:DWORD src1_sel:BYTE_0
	global_load_dwordx4 v[4:7], v4, s[4:5]
	s_mov_b32 s7, 0xcccd
	v_mul_u32_u24_sdwa v8, v22, s7 dst_sel:DWORD dst_unused:UNUSED_PAD src0_sel:WORD_0 src1_sel:DWORD
	v_lshrrev_b32_e32 v68, 18, v8
	v_mul_lo_u16_e32 v8, 5, v68
	v_sub_u16_e32 v67, v22, v8
	v_mul_u32_u24_sdwa v16, v26, s7 dst_sel:DWORD dst_unused:UNUSED_PAD src0_sel:WORD_0 src1_sel:DWORD
	v_lshlrev_b32_e32 v8, 4, v67
	v_lshrrev_b32_e32 v71, 18, v16
	global_load_dwordx4 v[12:15], v8, s[4:5]
	v_mul_lo_u16_e32 v16, 5, v71
	v_sub_u16_e32 v72, v26, v16
	v_lshlrev_b32_e32 v16, 4, v72
	global_load_dwordx4 v[16:19], v16, s[4:5]
	v_mul_u32_u24_sdwa v8, v23, s7 dst_sel:DWORD dst_unused:UNUSED_PAD src0_sel:WORD_0 src1_sel:DWORD
	v_lshrrev_b32_e32 v70, 18, v8
	v_mul_lo_u16_e32 v8, 5, v70
	v_sub_u16_e32 v69, v23, v8
	v_lshlrev_b32_e32 v8, 4, v69
	global_load_dwordx4 v[8:11], v8, s[4:5]
	ds_read_u16 v75, v28 offset:1250
	ds_read_u16 v76, v28 offset:1500
	ds_read_u16 v77, v28 offset:1750
	ds_read_u16 v74, v28 offset:2000
	ds_read_u16 v73, v28 offset:2250
	ds_read_u16 v80, v28 offset:2750
	ds_read_u16 v81, v28 offset:2500
	ds_read_u16 v82, v28
	v_mul_u32_u24_e32 v57, 50, v57
	s_mov_b32 s7, 0x5040100
	s_waitcnt vmcnt(4) lgkmcnt(7)
	v_mul_f16_sdwa v83, v75, v0 dst_sel:DWORD dst_unused:UNUSED_PAD src0_sel:DWORD src1_sel:WORD_1
	v_fma_f16 v83, v78, v0, v83
	v_mul_f16_sdwa v78, v78, v0 dst_sel:DWORD dst_unused:UNUSED_PAD src0_sel:DWORD src1_sel:WORD_1
	v_fma_f16 v0, v75, v0, -v78
	s_waitcnt lgkmcnt(1)
	v_mul_f16_sdwa v75, v81, v1 dst_sel:DWORD dst_unused:UNUSED_PAD src0_sel:DWORD src1_sel:WORD_1
	v_mul_f16_sdwa v78, v87, v1 dst_sel:DWORD dst_unused:UNUSED_PAD src0_sel:DWORD src1_sel:WORD_1
	v_fma_f16 v75, v87, v1, v75
	v_fma_f16 v1, v81, v1, -v78
	ds_read_u16 v78, v28 offset:3750
	ds_read_u16 v81, v28 offset:4000
	;; [unrolled: 1-line block ×6, first 2 shown]
	s_waitcnt lgkmcnt(5)
	v_mul_f16_sdwa v88, v78, v2 dst_sel:DWORD dst_unused:UNUSED_PAD src0_sel:DWORD src1_sel:WORD_1
	v_fma_f16 v88, v79, v2, v88
	v_mul_f16_sdwa v79, v79, v2 dst_sel:DWORD dst_unused:UNUSED_PAD src0_sel:DWORD src1_sel:WORD_1
	v_fma_f16 v2, v78, v2, -v79
	ds_read_u16 v78, v28 offset:5000
	ds_read_u16 v79, v28 offset:5250
	;; [unrolled: 1-line block ×5, first 2 shown]
	ds_read_u16 v92, v38
	ds_read_u16 v93, v37
	;; [unrolled: 1-line block ×3, first 2 shown]
	s_waitcnt lgkmcnt(7)
	v_mul_f16_sdwa v95, v78, v3 dst_sel:DWORD dst_unused:UNUSED_PAD src0_sel:DWORD src1_sel:WORD_1
	v_fma_f16 v95, v65, v3, v95
	v_mul_f16_sdwa v65, v65, v3 dst_sel:DWORD dst_unused:UNUSED_PAD src0_sel:DWORD src1_sel:WORD_1
	v_fma_f16 v3, v78, v3, -v65
	s_waitcnt vmcnt(3)
	v_mul_f16_sdwa v65, v76, v4 dst_sel:DWORD dst_unused:UNUSED_PAD src0_sel:DWORD src1_sel:WORD_1
	v_fma_f16 v78, v61, v4, v65
	v_mul_f16_sdwa v61, v61, v4 dst_sel:DWORD dst_unused:UNUSED_PAD src0_sel:DWORD src1_sel:WORD_1
	v_fma_f16 v4, v76, v4, -v61
	v_mul_f16_sdwa v61, v80, v5 dst_sel:DWORD dst_unused:UNUSED_PAD src0_sel:DWORD src1_sel:WORD_1
	v_fma_f16 v61, v64, v5, v61
	v_mul_f16_sdwa v64, v64, v5 dst_sel:DWORD dst_unused:UNUSED_PAD src0_sel:DWORD src1_sel:WORD_1
	v_fma_f16 v5, v80, v5, -v64
	;; [unrolled: 4-line block ×3, first 2 shown]
	s_waitcnt lgkmcnt(6)
	v_mul_f16_sdwa v64, v79, v7 dst_sel:DWORD dst_unused:UNUSED_PAD src0_sel:DWORD src1_sel:WORD_1
	v_fma_f16 v81, v60, v7, v64
	v_mul_f16_sdwa v60, v60, v7 dst_sel:DWORD dst_unused:UNUSED_PAD src0_sel:DWORD src1_sel:WORD_1
	v_fma_f16 v7, v79, v7, -v60
	ds_read_u16 v60, v28 offset:3000
	s_waitcnt vmcnt(2)
	v_mul_f16_sdwa v64, v77, v12 dst_sel:DWORD dst_unused:UNUSED_PAD src0_sel:DWORD src1_sel:WORD_1
	v_fma_f16 v79, v56, v12, v64
	v_mul_f16_sdwa v56, v56, v12 dst_sel:DWORD dst_unused:UNUSED_PAD src0_sel:DWORD src1_sel:WORD_1
	v_fma_f16 v12, v77, v12, -v56
	ds_read_u16 v56, v28 offset:3250
	s_waitcnt lgkmcnt(1)
	v_mul_f16_sdwa v64, v60, v13 dst_sel:DWORD dst_unused:UNUSED_PAD src0_sel:DWORD src1_sel:WORD_1
	v_fma_f16 v96, v55, v13, v64
	v_mul_f16_sdwa v55, v55, v13 dst_sel:DWORD dst_unused:UNUSED_PAD src0_sel:DWORD src1_sel:WORD_1
	v_fma_f16 v13, v60, v13, -v55
	v_mul_f16_sdwa v55, v84, v14 dst_sel:DWORD dst_unused:UNUSED_PAD src0_sel:DWORD src1_sel:WORD_1
	v_fma_f16 v97, v59, v14, v55
	v_mul_f16_sdwa v55, v59, v14 dst_sel:DWORD dst_unused:UNUSED_PAD src0_sel:DWORD src1_sel:WORD_1
	v_fma_f16 v14, v84, v14, -v55
	;; [unrolled: 4-line block ×3, first 2 shown]
	s_waitcnt vmcnt(0)
	v_mul_f16_sdwa v54, v74, v8 dst_sel:DWORD dst_unused:UNUSED_PAD src0_sel:DWORD src1_sel:WORD_1
	v_fma_f16 v89, v52, v8, v54
	v_mul_f16_sdwa v52, v52, v8 dst_sel:DWORD dst_unused:UNUSED_PAD src0_sel:DWORD src1_sel:WORD_1
	v_fma_f16 v8, v74, v8, -v52
	s_waitcnt lgkmcnt(0)
	v_mul_f16_sdwa v52, v56, v9 dst_sel:DWORD dst_unused:UNUSED_PAD src0_sel:DWORD src1_sel:WORD_1
	v_fma_f16 v98, v50, v9, v52
	v_mul_f16_sdwa v50, v50, v9 dst_sel:DWORD dst_unused:UNUSED_PAD src0_sel:DWORD src1_sel:WORD_1
	v_fma_f16 v9, v56, v9, -v50
	v_mul_f16_sdwa v50, v85, v10 dst_sel:DWORD dst_unused:UNUSED_PAD src0_sel:DWORD src1_sel:WORD_1
	v_fma_f16 v56, v53, v10, v50
	v_mul_f16_sdwa v50, v53, v10 dst_sel:DWORD dst_unused:UNUSED_PAD src0_sel:DWORD src1_sel:WORD_1
	v_fma_f16 v10, v85, v10, -v50
	;; [unrolled: 4-line block ×7, first 2 shown]
	v_sub_f16_e32 v46, v83, v75
	v_sub_f16_e32 v47, v95, v88
	v_add_f16_e32 v46, v46, v47
	v_add_f16_e32 v47, v75, v88
	v_fma_f16 v47, v47, -0.5, v41
	v_sub_f16_e32 v48, v0, v3
	v_fma_f16 v49, v48, s0, v47
	v_sub_f16_e32 v50, v1, v2
	v_fma_f16 v47, v48, s3, v47
	v_fma_f16 v49, v50, s1, v49
	;; [unrolled: 1-line block ×5, first 2 shown]
	v_sub_f16_e32 v47, v75, v83
	v_sub_f16_e32 v51, v88, v95
	v_add_f16_e32 v47, v47, v51
	v_add_f16_e32 v51, v83, v95
	v_fma_f16 v51, v51, -0.5, v41
	v_fma_f16 v52, v50, s3, v51
	v_add_f16_e32 v41, v41, v83
	v_fma_f16 v50, v50, s0, v51
	v_fma_f16 v51, v48, s1, v52
	v_add_f16_e32 v41, v41, v75
	v_sub_f16_e32 v52, v0, v1
	v_sub_f16_e32 v53, v3, v2
	v_fma_f16 v48, v48, s6, v50
	v_add_f16_e32 v41, v41, v88
	v_add_f16_e32 v52, v52, v53
	;; [unrolled: 1-line block ×3, first 2 shown]
	v_fma_f16 v50, v47, s2, v51
	v_fma_f16 v47, v47, s2, v48
	v_add_f16_e32 v48, v41, v95
	v_sub_f16_e32 v41, v83, v95
	v_fma_f16 v53, v53, -0.5, v82
	v_sub_f16_e32 v51, v75, v88
	v_fma_f16 v54, v41, s3, v53
	v_fma_f16 v53, v41, s0, v53
	v_fma_f16 v53, v51, s1, v53
	v_fma_f16 v54, v51, s6, v54
	v_fma_f16 v83, v52, s2, v53
	v_add_f16_e32 v53, v82, v0
	v_fma_f16 v75, v52, s2, v54
	v_add_f16_e32 v52, v0, v3
	v_add_f16_e32 v53, v53, v1
	v_fma_f16 v52, v52, -0.5, v82
	v_sub_f16_e32 v0, v1, v0
	v_add_f16_e32 v1, v53, v2
	v_sub_f16_e32 v2, v2, v3
	v_add_f16_e32 v1, v1, v3
	v_add_f16_e32 v0, v0, v2
	v_fma_f16 v2, v51, s0, v52
	v_fma_f16 v3, v51, s3, v52
	v_fma_f16 v2, v41, s6, v2
	v_fma_f16 v3, v41, s1, v3
	v_fma_f16 v2, v0, s2, v2
	v_fma_f16 v0, v0, s2, v3
	v_sub_f16_e32 v3, v78, v61
	v_sub_f16_e32 v41, v81, v80
	v_add_f16_e32 v3, v3, v41
	v_add_f16_e32 v41, v61, v80
	v_fma_f16 v41, v41, -0.5, v45
	v_sub_f16_e32 v51, v4, v7
	v_fma_f16 v52, v51, s0, v41
	v_sub_f16_e32 v53, v5, v6
	v_fma_f16 v41, v51, s3, v41
	v_fma_f16 v52, v53, s1, v52
	v_fma_f16 v41, v53, s6, v41
	v_fma_f16 v52, v3, s2, v52
	v_fma_f16 v3, v3, s2, v41
	v_sub_f16_e32 v41, v61, v78
	v_sub_f16_e32 v54, v80, v81
	v_add_f16_e32 v41, v41, v54
	v_add_f16_e32 v54, v78, v81
	v_fma_f16 v54, v54, -0.5, v45
	v_fma_f16 v55, v53, s3, v54
	v_fma_f16 v53, v53, s0, v54
	v_fma_f16 v54, v51, s1, v55
	v_fma_f16 v51, v51, s6, v53
	v_fma_f16 v53, v41, s2, v54
	v_fma_f16 v51, v41, s2, v51
	v_sub_f16_e32 v41, v79, v96
	v_sub_f16_e32 v54, v84, v97
	v_add_f16_e32 v41, v41, v54
	v_add_f16_e32 v54, v96, v97
	v_fma_f16 v54, v54, -0.5, v44
	v_sub_f16_e32 v55, v12, v15
	v_fma_f16 v59, v55, s0, v54
	v_sub_f16_e32 v60, v13, v14
	v_fma_f16 v54, v55, s3, v54
	v_fma_f16 v59, v60, s1, v59
	v_fma_f16 v54, v60, s6, v54
	v_fma_f16 v59, v41, s2, v59
	v_fma_f16 v54, v41, s2, v54
	v_sub_f16_e32 v41, v96, v79
	v_sub_f16_e32 v64, v97, v84
	v_add_f16_e32 v41, v41, v64
	v_add_f16_e32 v64, v79, v84
	v_fma_f16 v64, v64, -0.5, v44
	;; [unrolled: 24-line block ×4, first 2 shown]
	v_fma_f16 v95, v88, s3, v91
	v_fma_f16 v88, v88, s0, v91
	v_fma_f16 v91, v77, s1, v95
	v_fma_f16 v77, v77, s6, v88
	v_fma_f16 v88, v41, s2, v91
	v_fma_f16 v77, v41, s2, v77
	v_mov_b32_e32 v41, 1
	v_lshlrev_b32_sdwa v58, v41, v58 dst_sel:DWORD dst_unused:UNUSED_PAD src0_sel:DWORD src1_sel:BYTE_0
	v_add_f16_e32 v45, v45, v78
	v_add3_u32 v57, 0, v57, v58
	v_add_f16_e32 v45, v45, v61
	ds_read_u16 v91, v39
	s_waitcnt lgkmcnt(0)
	s_barrier
	ds_write_b16 v57, v48
	ds_write_b16 v57, v49 offset:10
	ds_write_b16 v57, v50 offset:20
	;; [unrolled: 1-line block ×4, first 2 shown]
	v_mul_u32_u24_e32 v46, 50, v62
	v_lshlrev_b32_sdwa v47, v41, v63 dst_sel:DWORD dst_unused:UNUSED_PAD src0_sel:DWORD src1_sel:BYTE_0
	v_add_f16_e32 v45, v45, v80
	v_add3_u32 v63, 0, v46, v47
	v_add_f16_e32 v45, v45, v81
	ds_write_b16 v63, v45
	ds_write_b16 v63, v52 offset:10
	ds_write_b16 v63, v53 offset:20
	;; [unrolled: 1-line block ×4, first 2 shown]
	v_perm_b32 v3, v70, v68, s7
	v_add_f16_e32 v44, v44, v79
	v_pk_mul_lo_u16 v3, v3, 50 op_sel_hi:[1,0]
	v_add_f16_e32 v44, v44, v96
	v_lshlrev_b32_e32 v45, 1, v67
	v_and_b32_e32 v46, 0xfffe, v3
	v_add_f16_e32 v44, v44, v97
	v_add_f16_e32 v42, v42, v89
	v_add3_u32 v68, 0, v46, v45
	v_add_f16_e32 v44, v44, v84
	v_add_f16_e32 v42, v42, v98
	ds_write_b16 v68, v44
	ds_write_b16 v68, v59 offset:10
	ds_write_b16 v68, v60 offset:20
	;; [unrolled: 1-line block ×4, first 2 shown]
	v_lshrrev_b32_e32 v3, 16, v3
	v_lshlrev_b32_e32 v44, 1, v69
	v_add_f16_e32 v42, v42, v56
	v_add3_u32 v3, 0, v3, v44
	v_add_f16_e32 v42, v42, v85
	ds_write_b16 v3, v42
	ds_write_b16 v3, v66 offset:10
	ds_write_b16 v3, v74 offset:20
	;; [unrolled: 1-line block ×4, first 2 shown]
	v_mul_u32_u24_e32 v42, 50, v71
	v_lshlrev_b32_e32 v44, 1, v72
	v_add3_u32 v69, 0, v42, v44
	v_add_f16_e32 v42, v43, v90
	v_add_f16_e32 v42, v42, v73
	;; [unrolled: 1-line block ×4, first 2 shown]
	ds_write_b16 v69, v42
	ds_write_b16 v69, v82 offset:10
	ds_write_b16 v69, v88 offset:20
	;; [unrolled: 1-line block ×4, first 2 shown]
	s_waitcnt lgkmcnt(0)
	s_barrier
	ds_read_u16 v42, v38
	ds_read_u16 v46, v28
	ds_read_u16 v74, v28 offset:1250
	ds_read_u16 v64, v28 offset:1500
	;; [unrolled: 1-line block ×10, first 2 shown]
	ds_read_u16 v43, v39
	ds_read_u16 v65, v28 offset:2750
	ds_read_u16 v77, v28 offset:2500
	;; [unrolled: 1-line block ×9, first 2 shown]
	ds_read_u16 v44, v37
	ds_read_u16 v45, v36
	ds_read_u16 v48, v28 offset:6000
	s_waitcnt lgkmcnt(0)
	s_barrier
	ds_write_b16 v57, v1
	ds_write_b16 v57, v75 offset:10
	ds_write_b16 v57, v2 offset:20
	;; [unrolled: 1-line block ×4, first 2 shown]
	v_sub_f16_e32 v2, v4, v5
	v_sub_f16_e32 v57, v7, v6
	v_add_f16_e32 v2, v2, v57
	v_add_f16_e32 v57, v5, v6
	v_sub_f16_e32 v0, v78, v81
	v_fma_f16 v57, v57, -0.5, v94
	v_sub_f16_e32 v1, v61, v80
	v_fma_f16 v61, v0, s3, v57
	v_fma_f16 v57, v0, s0, v57
	;; [unrolled: 1-line block ×4, first 2 shown]
	v_add_f16_e32 v70, v94, v4
	v_fma_f16 v61, v2, s2, v61
	v_fma_f16 v2, v2, s2, v57
	v_add_f16_e32 v57, v4, v7
	v_add_f16_e32 v70, v70, v5
	v_fma_f16 v57, v57, -0.5, v94
	v_sub_f16_e32 v4, v5, v4
	v_add_f16_e32 v5, v70, v6
	v_sub_f16_e32 v6, v6, v7
	v_add_f16_e32 v4, v4, v6
	v_fma_f16 v6, v1, s0, v57
	v_fma_f16 v1, v1, s3, v57
	v_add_f16_e32 v5, v5, v7
	v_fma_f16 v6, v0, s6, v6
	v_fma_f16 v0, v0, s1, v1
	;; [unrolled: 1-line block ×4, first 2 shown]
	ds_write_b16 v63, v5
	ds_write_b16 v63, v61 offset:10
	ds_write_b16 v63, v1 offset:20
	;; [unrolled: 1-line block ×4, first 2 shown]
	v_sub_f16_e32 v2, v12, v13
	v_sub_f16_e32 v4, v15, v14
	v_add_f16_e32 v2, v2, v4
	v_add_f16_e32 v4, v13, v14
	v_sub_f16_e32 v0, v79, v84
	v_fma_f16 v4, v4, -0.5, v93
	v_sub_f16_e32 v1, v96, v97
	v_fma_f16 v5, v0, s3, v4
	v_fma_f16 v4, v0, s0, v4
	;; [unrolled: 1-line block ×6, first 2 shown]
	v_add_f16_e32 v4, v12, v15
	v_fma_f16 v4, v4, -0.5, v93
	v_add_f16_e32 v6, v93, v12
	v_sub_f16_e32 v7, v13, v12
	v_sub_f16_e32 v12, v14, v15
	v_add_f16_e32 v7, v7, v12
	v_fma_f16 v12, v1, s0, v4
	v_add_f16_e32 v6, v6, v13
	v_fma_f16 v1, v1, s3, v4
	v_fma_f16 v4, v0, s6, v12
	v_sub_f16_e32 v12, v8, v9
	v_sub_f16_e32 v13, v11, v10
	v_add_f16_e32 v12, v12, v13
	v_add_f16_e32 v13, v9, v10
	v_fma_f16 v0, v0, s1, v1
	v_fma_f16 v1, v7, s2, v4
	v_sub_f16_e32 v4, v89, v85
	v_fma_f16 v13, v13, -0.5, v92
	v_add_f16_e32 v6, v6, v14
	v_fma_f16 v0, v7, s2, v0
	v_sub_f16_e32 v7, v98, v56
	v_fma_f16 v14, v4, s3, v13
	v_fma_f16 v13, v4, s0, v13
	v_add_f16_e32 v6, v6, v15
	v_fma_f16 v14, v7, s6, v14
	v_fma_f16 v13, v7, s1, v13
	v_add_f16_e32 v15, v92, v8
	;; [unrolled: 3-line block ×3, first 2 shown]
	v_add_f16_e32 v15, v15, v9
	v_fma_f16 v13, v13, -0.5, v92
	v_sub_f16_e32 v8, v9, v8
	v_add_f16_e32 v9, v15, v10
	v_sub_f16_e32 v10, v10, v11
	v_add_f16_e32 v9, v9, v11
	v_add_f16_e32 v8, v8, v10
	v_fma_f16 v10, v7, s0, v13
	v_fma_f16 v7, v7, s3, v13
	v_sub_f16_e32 v11, v16, v17
	v_sub_f16_e32 v13, v19, v18
	v_fma_f16 v10, v4, s6, v10
	v_fma_f16 v4, v4, s1, v7
	v_add_f16_e32 v11, v11, v13
	v_add_f16_e32 v13, v17, v18
	v_fma_f16 v7, v8, s2, v10
	v_fma_f16 v4, v8, s2, v4
	v_sub_f16_e32 v8, v90, v86
	v_fma_f16 v13, v13, -0.5, v91
	v_sub_f16_e32 v10, v73, v87
	v_fma_f16 v15, v8, s3, v13
	v_fma_f16 v13, v8, s0, v13
	;; [unrolled: 1-line block ×4, first 2 shown]
	v_add_f16_e32 v56, v91, v16
	v_fma_f16 v15, v11, s2, v15
	v_fma_f16 v11, v11, s2, v13
	v_add_f16_e32 v13, v16, v19
	v_add_f16_e32 v56, v56, v17
	v_fma_f16 v13, v13, -0.5, v91
	v_sub_f16_e32 v16, v17, v16
	v_add_f16_e32 v17, v56, v18
	v_sub_f16_e32 v18, v18, v19
	v_add_f16_e32 v16, v16, v18
	v_fma_f16 v18, v10, s0, v13
	v_fma_f16 v10, v10, s3, v13
	;; [unrolled: 1-line block ×4, first 2 shown]
	v_add_f16_e32 v17, v17, v19
	v_fma_f16 v10, v16, s2, v13
	v_fma_f16 v8, v16, s2, v8
	ds_write_b16 v68, v6
	ds_write_b16 v68, v5 offset:10
	ds_write_b16 v68, v1 offset:20
	ds_write_b16 v68, v0 offset:30
	ds_write_b16 v68, v2 offset:40
	ds_write_b16 v3, v9
	ds_write_b16 v3, v14 offset:10
	ds_write_b16 v3, v7 offset:20
	ds_write_b16 v3, v4 offset:30
	ds_write_b16 v3, v12 offset:40
	ds_write_b16 v69, v17
	ds_write_b16 v69, v15 offset:10
	ds_write_b16 v69, v10 offset:20
	ds_write_b16 v69, v8 offset:30
	ds_write_b16 v69, v11 offset:40
	v_mov_b32_e32 v4, 41
	v_mul_lo_u16_sdwa v0, v24, v4 dst_sel:DWORD dst_unused:UNUSED_PAD src0_sel:BYTE_0 src1_sel:DWORD
	v_lshrrev_b16_e32 v56, 10, v0
	v_mul_lo_u16_e32 v0, 25, v56
	v_sub_u16_e32 v57, v24, v0
	v_lshlrev_b32_sdwa v0, v40, v57 dst_sel:DWORD dst_unused:UNUSED_PAD src0_sel:DWORD src1_sel:BYTE_0
	s_waitcnt lgkmcnt(0)
	s_barrier
	global_load_dwordx4 v[0:3], v0, s[4:5] offset:80
	v_mul_lo_u16_sdwa v4, v25, v4 dst_sel:DWORD dst_unused:UNUSED_PAD src0_sel:BYTE_0 src1_sel:DWORD
	v_lshrrev_b16_e32 v61, 10, v4
	v_mul_lo_u16_e32 v4, 25, v61
	v_sub_u16_e32 v63, v25, v4
	v_lshlrev_b32_sdwa v4, v40, v63 dst_sel:DWORD dst_unused:UNUSED_PAD src0_sel:DWORD src1_sel:BYTE_0
	global_load_dwordx4 v[4:7], v4, s[4:5] offset:80
	s_movk_i32 s7, 0x47af
	v_mul_u32_u24_sdwa v8, v22, s7 dst_sel:DWORD dst_unused:UNUSED_PAD src0_sel:WORD_0 src1_sel:DWORD
	v_mul_u32_u24_sdwa v16, v26, s7 dst_sel:DWORD dst_unused:UNUSED_PAD src0_sel:WORD_0 src1_sel:DWORD
	v_sub_u16_sdwa v9, v22, v8 dst_sel:DWORD dst_unused:UNUSED_PAD src0_sel:DWORD src1_sel:WORD_1
	v_sub_u16_sdwa v17, v26, v16 dst_sel:DWORD dst_unused:UNUSED_PAD src0_sel:DWORD src1_sel:WORD_1
	v_lshrrev_b16_e32 v9, 1, v9
	v_lshrrev_b16_e32 v17, 1, v17
	v_add_u16_sdwa v8, v9, v8 dst_sel:DWORD dst_unused:UNUSED_PAD src0_sel:DWORD src1_sel:WORD_1
	v_add_u16_sdwa v16, v17, v16 dst_sel:DWORD dst_unused:UNUSED_PAD src0_sel:DWORD src1_sel:WORD_1
	v_lshrrev_b16_e32 v40, 4, v8
	v_lshrrev_b16_e32 v71, 4, v16
	v_mul_lo_u16_e32 v8, 25, v40
	v_mul_lo_u16_e32 v16, 25, v71
	v_sub_u16_e32 v68, v22, v8
	v_sub_u16_e32 v72, v26, v16
	v_lshlrev_b32_e32 v8, 4, v68
	v_lshlrev_b32_e32 v16, 4, v72
	global_load_dwordx4 v[12:15], v8, s[4:5] offset:80
	v_mul_u32_u24_e32 v56, 0xfa, v56
	global_load_dwordx4 v[16:19], v16, s[4:5] offset:80
	v_mul_u32_u24_sdwa v8, v23, s7 dst_sel:DWORD dst_unused:UNUSED_PAD src0_sel:WORD_0 src1_sel:DWORD
	v_sub_u16_sdwa v9, v23, v8 dst_sel:DWORD dst_unused:UNUSED_PAD src0_sel:DWORD src1_sel:WORD_1
	v_lshrrev_b16_e32 v9, 1, v9
	v_add_u16_sdwa v8, v9, v8 dst_sel:DWORD dst_unused:UNUSED_PAD src0_sel:DWORD src1_sel:WORD_1
	v_lshrrev_b16_e32 v69, 4, v8
	v_mul_lo_u16_e32 v8, 25, v69
	v_sub_u16_e32 v70, v23, v8
	v_lshlrev_b32_e32 v8, 4, v70
	global_load_dwordx4 v[8:11], v8, s[4:5] offset:80
	ds_read_u16 v78, v28 offset:1250
	ds_read_u16 v79, v28 offset:1500
	;; [unrolled: 1-line block ×7, first 2 shown]
	ds_read_u16 v83, v28
	v_lshlrev_b32_sdwa v57, v41, v57 dst_sel:DWORD dst_unused:UNUSED_PAD src0_sel:DWORD src1_sel:BYTE_0
	s_movk_i32 s7, 0x625
	s_waitcnt vmcnt(4) lgkmcnt(7)
	v_mul_f16_sdwa v84, v78, v0 dst_sel:DWORD dst_unused:UNUSED_PAD src0_sel:DWORD src1_sel:WORD_1
	v_fma_f16 v84, v74, v0, v84
	v_mul_f16_sdwa v74, v74, v0 dst_sel:DWORD dst_unused:UNUSED_PAD src0_sel:DWORD src1_sel:WORD_1
	v_fma_f16 v0, v78, v0, -v74
	s_waitcnt lgkmcnt(1)
	v_mul_f16_sdwa v74, v82, v1 dst_sel:DWORD dst_unused:UNUSED_PAD src0_sel:DWORD src1_sel:WORD_1
	v_fma_f16 v74, v77, v1, v74
	v_mul_f16_sdwa v77, v77, v1 dst_sel:DWORD dst_unused:UNUSED_PAD src0_sel:DWORD src1_sel:WORD_1
	v_fma_f16 v1, v82, v1, -v77
	ds_read_u16 v77, v28 offset:3750
	ds_read_u16 v78, v28 offset:4000
	;; [unrolled: 1-line block ×6, first 2 shown]
	s_waitcnt lgkmcnt(5)
	v_mul_f16_sdwa v88, v77, v2 dst_sel:DWORD dst_unused:UNUSED_PAD src0_sel:DWORD src1_sel:WORD_1
	v_fma_f16 v88, v76, v2, v88
	v_mul_f16_sdwa v76, v76, v2 dst_sel:DWORD dst_unused:UNUSED_PAD src0_sel:DWORD src1_sel:WORD_1
	v_fma_f16 v2, v77, v2, -v76
	ds_read_u16 v76, v28 offset:5000
	ds_read_u16 v77, v28 offset:5250
	;; [unrolled: 1-line block ×5, first 2 shown]
	ds_read_u16 v92, v38
	ds_read_u16 v93, v37
	;; [unrolled: 1-line block ×3, first 2 shown]
	s_waitcnt lgkmcnt(7)
	v_mul_f16_sdwa v95, v76, v3 dst_sel:DWORD dst_unused:UNUSED_PAD src0_sel:DWORD src1_sel:WORD_1
	v_fma_f16 v95, v66, v3, v95
	v_mul_f16_sdwa v66, v66, v3 dst_sel:DWORD dst_unused:UNUSED_PAD src0_sel:DWORD src1_sel:WORD_1
	v_fma_f16 v3, v76, v3, -v66
	s_waitcnt vmcnt(3)
	v_mul_f16_sdwa v66, v79, v4 dst_sel:DWORD dst_unused:UNUSED_PAD src0_sel:DWORD src1_sel:WORD_1
	v_fma_f16 v66, v64, v4, v66
	v_mul_f16_sdwa v64, v64, v4 dst_sel:DWORD dst_unused:UNUSED_PAD src0_sel:DWORD src1_sel:WORD_1
	v_fma_f16 v4, v79, v4, -v64
	v_mul_f16_sdwa v64, v81, v5 dst_sel:DWORD dst_unused:UNUSED_PAD src0_sel:DWORD src1_sel:WORD_1
	v_fma_f16 v64, v65, v5, v64
	v_mul_f16_sdwa v65, v65, v5 dst_sel:DWORD dst_unused:UNUSED_PAD src0_sel:DWORD src1_sel:WORD_1
	v_fma_f16 v5, v81, v5, -v65
	v_mul_f16_sdwa v65, v78, v6 dst_sel:DWORD dst_unused:UNUSED_PAD src0_sel:DWORD src1_sel:WORD_1
	v_fma_f16 v65, v67, v6, v65
	v_mul_f16_sdwa v67, v67, v6 dst_sel:DWORD dst_unused:UNUSED_PAD src0_sel:DWORD src1_sel:WORD_1
	v_fma_f16 v6, v78, v6, -v67
	s_waitcnt lgkmcnt(6)
	v_mul_f16_sdwa v67, v77, v7 dst_sel:DWORD dst_unused:UNUSED_PAD src0_sel:DWORD src1_sel:WORD_1
	v_fma_f16 v67, v62, v7, v67
	v_mul_f16_sdwa v62, v62, v7 dst_sel:DWORD dst_unused:UNUSED_PAD src0_sel:DWORD src1_sel:WORD_1
	v_fma_f16 v7, v77, v7, -v62
	ds_read_u16 v62, v28 offset:3000
	s_waitcnt vmcnt(2)
	v_mul_f16_sdwa v76, v80, v12 dst_sel:DWORD dst_unused:UNUSED_PAD src0_sel:DWORD src1_sel:WORD_1
	v_fma_f16 v76, v59, v12, v76
	v_mul_f16_sdwa v59, v59, v12 dst_sel:DWORD dst_unused:UNUSED_PAD src0_sel:DWORD src1_sel:WORD_1
	v_fma_f16 v12, v80, v12, -v59
	ds_read_u16 v59, v28 offset:3250
	s_waitcnt lgkmcnt(1)
	v_mul_f16_sdwa v77, v62, v13 dst_sel:DWORD dst_unused:UNUSED_PAD src0_sel:DWORD src1_sel:WORD_1
	v_fma_f16 v77, v58, v13, v77
	v_mul_f16_sdwa v58, v58, v13 dst_sel:DWORD dst_unused:UNUSED_PAD src0_sel:DWORD src1_sel:WORD_1
	v_fma_f16 v13, v62, v13, -v58
	v_mul_f16_sdwa v58, v82, v14 dst_sel:DWORD dst_unused:UNUSED_PAD src0_sel:DWORD src1_sel:WORD_1
	v_fma_f16 v62, v60, v14, v58
	v_mul_f16_sdwa v58, v60, v14 dst_sel:DWORD dst_unused:UNUSED_PAD src0_sel:DWORD src1_sel:WORD_1
	v_fma_f16 v14, v82, v14, -v58
	;; [unrolled: 4-line block ×3, first 2 shown]
	s_waitcnt vmcnt(0)
	v_mul_f16_sdwa v55, v75, v8 dst_sel:DWORD dst_unused:UNUSED_PAD src0_sel:DWORD src1_sel:WORD_1
	v_fma_f16 v78, v53, v8, v55
	v_mul_f16_sdwa v53, v53, v8 dst_sel:DWORD dst_unused:UNUSED_PAD src0_sel:DWORD src1_sel:WORD_1
	v_fma_f16 v8, v75, v8, -v53
	s_waitcnt lgkmcnt(0)
	v_mul_f16_sdwa v53, v59, v9 dst_sel:DWORD dst_unused:UNUSED_PAD src0_sel:DWORD src1_sel:WORD_1
	v_fma_f16 v75, v51, v9, v53
	v_mul_f16_sdwa v51, v51, v9 dst_sel:DWORD dst_unused:UNUSED_PAD src0_sel:DWORD src1_sel:WORD_1
	v_fma_f16 v9, v59, v9, -v51
	v_mul_f16_sdwa v51, v85, v10 dst_sel:DWORD dst_unused:UNUSED_PAD src0_sel:DWORD src1_sel:WORD_1
	v_fma_f16 v79, v54, v10, v51
	v_mul_f16_sdwa v51, v54, v10 dst_sel:DWORD dst_unused:UNUSED_PAD src0_sel:DWORD src1_sel:WORD_1
	v_fma_f16 v10, v85, v10, -v51
	v_mul_f16_sdwa v51, v90, v11 dst_sel:DWORD dst_unused:UNUSED_PAD src0_sel:DWORD src1_sel:WORD_1
	v_fma_f16 v80, v49, v11, v51
	v_mul_f16_sdwa v49, v49, v11 dst_sel:DWORD dst_unused:UNUSED_PAD src0_sel:DWORD src1_sel:WORD_1
	v_fma_f16 v11, v90, v11, -v49
	v_mul_f16_sdwa v49, v73, v16 dst_sel:DWORD dst_unused:UNUSED_PAD src0_sel:DWORD src1_sel:WORD_1
	v_fma_f16 v81, v50, v16, v49
	v_mul_f16_sdwa v49, v50, v16 dst_sel:DWORD dst_unused:UNUSED_PAD src0_sel:DWORD src1_sel:WORD_1
	v_fma_f16 v73, v73, v16, -v49
	v_mul_f16_sdwa v16, v87, v17 dst_sel:DWORD dst_unused:UNUSED_PAD src0_sel:DWORD src1_sel:WORD_1
	v_fma_f16 v82, v52, v17, v16
	v_mul_f16_sdwa v16, v52, v17 dst_sel:DWORD dst_unused:UNUSED_PAD src0_sel:DWORD src1_sel:WORD_1
	v_fma_f16 v85, v87, v17, -v16
	v_mul_f16_sdwa v16, v86, v18 dst_sel:DWORD dst_unused:UNUSED_PAD src0_sel:DWORD src1_sel:WORD_1
	v_fma_f16 v87, v47, v18, v16
	v_mul_f16_sdwa v16, v47, v18 dst_sel:DWORD dst_unused:UNUSED_PAD src0_sel:DWORD src1_sel:WORD_1
	v_fma_f16 v86, v86, v18, -v16
	v_mul_f16_sdwa v16, v91, v19 dst_sel:DWORD dst_unused:UNUSED_PAD src0_sel:DWORD src1_sel:WORD_1
	v_fma_f16 v89, v48, v19, v16
	v_mul_f16_sdwa v16, v48, v19 dst_sel:DWORD dst_unused:UNUSED_PAD src0_sel:DWORD src1_sel:WORD_1
	v_fma_f16 v19, v91, v19, -v16
	v_sub_f16_e32 v16, v84, v74
	v_sub_f16_e32 v17, v95, v88
	v_add_f16_e32 v16, v16, v17
	v_add_f16_e32 v17, v74, v88
	v_fma_f16 v17, v17, -0.5, v46
	v_sub_f16_e32 v18, v0, v3
	v_fma_f16 v47, v18, s0, v17
	v_sub_f16_e32 v48, v1, v2
	v_fma_f16 v17, v18, s3, v17
	v_fma_f16 v47, v48, s1, v47
	;; [unrolled: 1-line block ×5, first 2 shown]
	v_sub_f16_e32 v17, v74, v84
	v_sub_f16_e32 v49, v88, v95
	v_add_f16_e32 v17, v17, v49
	v_add_f16_e32 v49, v84, v95
	v_fma_f16 v49, v49, -0.5, v46
	v_fma_f16 v50, v48, s3, v49
	v_fma_f16 v48, v48, s0, v49
	;; [unrolled: 1-line block ×3, first 2 shown]
	v_sub_f16_e32 v50, v0, v1
	v_sub_f16_e32 v51, v3, v2
	v_fma_f16 v18, v18, s6, v48
	v_add_f16_e32 v50, v50, v51
	v_add_f16_e32 v51, v1, v2
	v_fma_f16 v48, v17, s2, v49
	v_fma_f16 v17, v17, s2, v18
	v_add_f16_e32 v18, v46, v84
	v_sub_f16_e32 v46, v84, v95
	v_fma_f16 v51, v51, -0.5, v83
	v_sub_f16_e32 v49, v74, v88
	v_fma_f16 v52, v46, s3, v51
	v_fma_f16 v51, v46, s0, v51
	;; [unrolled: 1-line block ×5, first 2 shown]
	v_add_f16_e32 v51, v83, v0
	v_add_f16_e32 v18, v18, v74
	v_fma_f16 v74, v50, s2, v52
	v_add_f16_e32 v50, v0, v3
	v_add_f16_e32 v51, v51, v1
	v_fma_f16 v50, v50, -0.5, v83
	v_sub_f16_e32 v0, v1, v0
	v_add_f16_e32 v1, v51, v2
	v_sub_f16_e32 v2, v2, v3
	v_add_f16_e32 v1, v1, v3
	v_add_f16_e32 v0, v0, v2
	v_fma_f16 v2, v49, s0, v50
	v_fma_f16 v3, v49, s3, v50
	;; [unrolled: 1-line block ×6, first 2 shown]
	v_sub_f16_e32 v3, v66, v64
	v_sub_f16_e32 v46, v67, v65
	v_add_f16_e32 v3, v3, v46
	v_add_f16_e32 v46, v64, v65
	v_fma_f16 v46, v46, -0.5, v45
	v_sub_f16_e32 v49, v4, v7
	v_fma_f16 v50, v49, s0, v46
	v_sub_f16_e32 v51, v5, v6
	v_fma_f16 v46, v49, s3, v46
	v_fma_f16 v50, v51, s1, v50
	;; [unrolled: 1-line block ×5, first 2 shown]
	v_sub_f16_e32 v46, v64, v66
	v_sub_f16_e32 v52, v65, v67
	v_add_f16_e32 v46, v46, v52
	v_add_f16_e32 v52, v66, v67
	v_fma_f16 v52, v52, -0.5, v45
	v_fma_f16 v53, v51, s3, v52
	v_fma_f16 v51, v51, s0, v52
	;; [unrolled: 1-line block ×6, first 2 shown]
	v_sub_f16_e32 v49, v76, v77
	v_sub_f16_e32 v52, v60, v62
	v_add_f16_e32 v49, v49, v52
	v_add_f16_e32 v52, v77, v62
	v_fma_f16 v52, v52, -0.5, v44
	v_sub_f16_e32 v53, v12, v15
	v_fma_f16 v54, v53, s0, v52
	v_sub_f16_e32 v55, v13, v14
	v_fma_f16 v52, v53, s3, v52
	v_fma_f16 v54, v55, s1, v54
	;; [unrolled: 1-line block ×5, first 2 shown]
	v_sub_f16_e32 v52, v77, v76
	v_sub_f16_e32 v58, v62, v60
	v_add_f16_e32 v52, v52, v58
	v_add_f16_e32 v58, v76, v60
	v_fma_f16 v58, v58, -0.5, v44
	v_fma_f16 v59, v55, s3, v58
	v_fma_f16 v55, v55, s0, v58
	;; [unrolled: 1-line block ×6, first 2 shown]
	v_sub_f16_e32 v53, v78, v75
	v_sub_f16_e32 v58, v80, v79
	v_add_f16_e32 v53, v53, v58
	v_add_f16_e32 v58, v75, v79
	v_fma_f16 v58, v58, -0.5, v42
	v_sub_f16_e32 v59, v8, v11
	v_add_f16_e32 v18, v18, v88
	v_fma_f16 v83, v59, s0, v58
	v_sub_f16_e32 v88, v9, v10
	v_fma_f16 v58, v59, s3, v58
	v_fma_f16 v83, v88, s1, v83
	;; [unrolled: 1-line block ×5, first 2 shown]
	v_sub_f16_e32 v58, v75, v78
	v_sub_f16_e32 v90, v79, v80
	v_add_f16_e32 v58, v58, v90
	v_add_f16_e32 v90, v78, v80
	v_fma_f16 v90, v90, -0.5, v42
	v_fma_f16 v91, v88, s3, v90
	v_fma_f16 v88, v88, s0, v90
	;; [unrolled: 1-line block ×6, first 2 shown]
	v_sub_f16_e32 v59, v81, v82
	v_sub_f16_e32 v90, v89, v87
	v_add_f16_e32 v59, v59, v90
	v_add_f16_e32 v90, v82, v87
	v_fma_f16 v90, v90, -0.5, v43
	v_sub_f16_e32 v91, v73, v19
	v_add_f16_e32 v18, v18, v95
	v_fma_f16 v95, v91, s0, v90
	v_sub_f16_e32 v96, v85, v86
	v_fma_f16 v90, v91, s3, v90
	v_fma_f16 v95, v96, s1, v95
	;; [unrolled: 1-line block ×5, first 2 shown]
	v_sub_f16_e32 v90, v82, v81
	v_sub_f16_e32 v97, v87, v89
	v_add_f16_e32 v90, v90, v97
	v_add_f16_e32 v97, v81, v89
	v_fma_f16 v97, v97, -0.5, v43
	v_fma_f16 v98, v96, s3, v97
	v_fma_f16 v96, v96, s0, v97
	;; [unrolled: 1-line block ×6, first 2 shown]
	v_add3_u32 v91, 0, v56, v57
	ds_read_u16 v97, v39
	s_waitcnt lgkmcnt(0)
	s_barrier
	ds_write_b16 v91, v18
	ds_write_b16 v91, v47 offset:50
	ds_write_b16 v91, v48 offset:100
	;; [unrolled: 1-line block ×4, first 2 shown]
	v_lshlrev_b32_sdwa v16, v41, v63 dst_sel:DWORD dst_unused:UNUSED_PAD src0_sel:DWORD src1_sel:BYTE_0
	v_mul_u32_u24_e32 v17, 0xfa, v61
	v_add3_u32 v41, 0, v17, v16
	v_add_f16_e32 v16, v45, v66
	v_add_f16_e32 v16, v16, v64
	v_add_f16_e32 v16, v16, v65
	v_add_f16_e32 v16, v16, v67
	ds_write_b16 v41, v16
	ds_write_b16 v41, v50 offset:50
	ds_write_b16 v41, v51 offset:100
	ds_write_b16 v41, v46 offset:150
	ds_write_b16 v41, v3 offset:200
	v_mul_u32_u24_e32 v3, 0xfa, v40
	v_lshlrev_b32_e32 v16, 1, v68
	v_add3_u32 v3, 0, v3, v16
	v_add_f16_e32 v16, v44, v76
	v_add_f16_e32 v16, v16, v77
	v_add_f16_e32 v16, v16, v62
	v_add_f16_e32 v16, v16, v60
	ds_write_b16 v3, v16
	ds_write_b16 v3, v54 offset:50
	ds_write_b16 v3, v55 offset:100
	ds_write_b16 v3, v52 offset:150
	ds_write_b16 v3, v49 offset:200
	v_mul_u32_u24_e32 v16, 0xfa, v69
	v_lshlrev_b32_e32 v17, 1, v70
	;; [unrolled: 12-line block ×3, first 2 shown]
	v_add3_u32 v63, 0, v16, v17
	v_add_f16_e32 v16, v43, v81
	v_add_f16_e32 v16, v16, v82
	;; [unrolled: 1-line block ×4, first 2 shown]
	ds_write_b16 v63, v16
	ds_write_b16 v63, v95 offset:50
	ds_write_b16 v63, v96 offset:100
	;; [unrolled: 1-line block ×4, first 2 shown]
	s_waitcnt lgkmcnt(0)
	s_barrier
	ds_read_u16 v17, v38
	ds_read_u16 v42, v28
	ds_read_u16 v68, v28 offset:1250
	ds_read_u16 v56, v28 offset:1500
	;; [unrolled: 1-line block ×10, first 2 shown]
	ds_read_u16 v16, v39
	ds_read_u16 v57, v28 offset:2750
	ds_read_u16 v69, v28 offset:2500
	;; [unrolled: 1-line block ×9, first 2 shown]
	ds_read_u16 v18, v37
	ds_read_u16 v40, v36
	ds_read_u16 v44, v28 offset:6000
	s_waitcnt lgkmcnt(0)
	s_barrier
	ds_write_b16 v91, v1
	ds_write_b16 v91, v74 offset:50
	ds_write_b16 v91, v2 offset:100
	ds_write_b16 v91, v0 offset:150
	ds_write_b16 v91, v84 offset:200
	v_sub_f16_e32 v1, v64, v65
	v_sub_f16_e32 v2, v4, v5
	;; [unrolled: 1-line block ×3, first 2 shown]
	v_add_f16_e32 v2, v2, v64
	v_add_f16_e32 v64, v5, v6
	v_sub_f16_e32 v0, v66, v67
	v_fma_f16 v64, v64, -0.5, v94
	v_fma_f16 v65, v0, s3, v64
	v_fma_f16 v64, v0, s0, v64
	;; [unrolled: 1-line block ×4, first 2 shown]
	v_add_f16_e32 v66, v94, v4
	v_fma_f16 v65, v2, s2, v65
	v_fma_f16 v2, v2, s2, v64
	v_add_f16_e32 v64, v4, v7
	v_add_f16_e32 v66, v66, v5
	v_fma_f16 v64, v64, -0.5, v94
	v_sub_f16_e32 v4, v5, v4
	v_add_f16_e32 v5, v66, v6
	v_sub_f16_e32 v6, v6, v7
	v_add_f16_e32 v4, v4, v6
	v_fma_f16 v6, v1, s0, v64
	v_fma_f16 v1, v1, s3, v64
	v_add_f16_e32 v5, v5, v7
	v_fma_f16 v6, v0, s6, v6
	v_fma_f16 v0, v0, s1, v1
	;; [unrolled: 1-line block ×4, first 2 shown]
	ds_write_b16 v41, v5
	ds_write_b16 v41, v65 offset:50
	ds_write_b16 v41, v1 offset:100
	;; [unrolled: 1-line block ×4, first 2 shown]
	v_sub_f16_e32 v2, v12, v13
	v_sub_f16_e32 v4, v15, v14
	v_add_f16_e32 v2, v2, v4
	v_add_f16_e32 v4, v13, v14
	v_sub_f16_e32 v0, v76, v60
	v_fma_f16 v4, v4, -0.5, v93
	v_sub_f16_e32 v1, v77, v62
	v_fma_f16 v5, v0, s3, v4
	v_fma_f16 v4, v0, s0, v4
	;; [unrolled: 1-line block ×6, first 2 shown]
	v_add_f16_e32 v4, v12, v15
	v_fma_f16 v4, v4, -0.5, v93
	v_add_f16_e32 v6, v93, v12
	v_sub_f16_e32 v7, v13, v12
	v_sub_f16_e32 v12, v14, v15
	v_add_f16_e32 v7, v7, v12
	v_fma_f16 v12, v1, s0, v4
	v_add_f16_e32 v6, v6, v13
	v_fma_f16 v1, v1, s3, v4
	v_fma_f16 v4, v0, s6, v12
	v_sub_f16_e32 v12, v8, v9
	v_sub_f16_e32 v13, v11, v10
	v_add_f16_e32 v12, v12, v13
	v_add_f16_e32 v13, v9, v10
	v_fma_f16 v0, v0, s1, v1
	v_fma_f16 v1, v7, s2, v4
	v_sub_f16_e32 v4, v78, v80
	v_fma_f16 v13, v13, -0.5, v92
	v_add_f16_e32 v6, v6, v14
	v_fma_f16 v0, v7, s2, v0
	v_sub_f16_e32 v7, v75, v79
	v_fma_f16 v14, v4, s3, v13
	v_fma_f16 v13, v4, s0, v13
	v_add_f16_e32 v6, v6, v15
	v_fma_f16 v14, v7, s6, v14
	v_fma_f16 v13, v7, s1, v13
	v_add_f16_e32 v15, v92, v8
	;; [unrolled: 3-line block ×3, first 2 shown]
	v_add_f16_e32 v15, v15, v9
	v_fma_f16 v13, v13, -0.5, v92
	v_sub_f16_e32 v8, v9, v8
	v_add_f16_e32 v9, v15, v10
	v_sub_f16_e32 v10, v10, v11
	v_add_f16_e32 v9, v9, v11
	v_add_f16_e32 v8, v8, v10
	v_fma_f16 v10, v7, s0, v13
	v_fma_f16 v7, v7, s3, v13
	v_sub_f16_e32 v11, v73, v85
	v_sub_f16_e32 v13, v19, v86
	v_fma_f16 v10, v4, s6, v10
	v_fma_f16 v4, v4, s1, v7
	v_add_f16_e32 v11, v11, v13
	v_add_f16_e32 v13, v85, v86
	v_fma_f16 v7, v8, s2, v10
	v_fma_f16 v4, v8, s2, v4
	v_sub_f16_e32 v8, v81, v89
	v_fma_f16 v13, v13, -0.5, v97
	v_sub_f16_e32 v10, v82, v87
	v_fma_f16 v15, v8, s3, v13
	v_fma_f16 v13, v8, s0, v13
	v_add_f16_e32 v41, v97, v73
	v_fma_f16 v15, v10, s6, v15
	v_fma_f16 v13, v10, s1, v13
	v_add_f16_e32 v41, v41, v85
	;; [unrolled: 3-line block ×3, first 2 shown]
	v_add_f16_e32 v41, v41, v86
	v_fma_f16 v13, v13, -0.5, v97
	v_sub_f16_e32 v60, v85, v73
	v_add_f16_e32 v41, v41, v19
	v_sub_f16_e32 v19, v86, v19
	v_add_f16_e32 v19, v60, v19
	v_fma_f16 v60, v10, s0, v13
	v_fma_f16 v10, v10, s3, v13
	;; [unrolled: 1-line block ×6, first 2 shown]
	ds_write_b16 v3, v6
	ds_write_b16 v3, v5 offset:50
	ds_write_b16 v3, v1 offset:100
	ds_write_b16 v3, v0 offset:150
	ds_write_b16 v3, v2 offset:200
	ds_write_b16 v61, v9
	ds_write_b16 v61, v14 offset:50
	ds_write_b16 v61, v7 offset:100
	ds_write_b16 v61, v4 offset:150
	ds_write_b16 v61, v12 offset:200
	;; [unrolled: 5-line block ×3, first 2 shown]
	v_lshlrev_b32_e32 v12, 2, v24
	v_mov_b32_e32 v13, 0
	v_lshl_add_u64 v[14:15], v[12:13], 2, s[4:5]
	s_waitcnt lgkmcnt(0)
	s_barrier
	global_load_dwordx4 v[0:3], v[14:15], off offset:480
	v_mul_u32_u24_sdwa v4, v22, s7 dst_sel:DWORD dst_unused:UNUSED_PAD src0_sel:WORD_0 src1_sel:DWORD
	v_sub_u16_sdwa v5, v22, v4 dst_sel:DWORD dst_unused:UNUSED_PAD src0_sel:DWORD src1_sel:WORD_1
	v_lshrrev_b16_e32 v5, 1, v5
	v_add_u16_sdwa v4, v5, v4 dst_sel:DWORD dst_unused:UNUSED_PAD src0_sel:DWORD src1_sel:WORD_1
	v_lshrrev_b16_e32 v4, 6, v4
	v_mul_lo_u16_e32 v4, 0x7d, v4
	v_sub_u16_e32 v12, v22, v4
	v_lshlrev_b32_e32 v4, 4, v12
	global_load_dwordx4 v[8:11], v4, s[4:5] offset:480
	v_mul_u32_u24_sdwa v4, v23, s7 dst_sel:DWORD dst_unused:UNUSED_PAD src0_sel:WORD_0 src1_sel:DWORD
	v_sub_u16_sdwa v5, v23, v4 dst_sel:DWORD dst_unused:UNUSED_PAD src0_sel:DWORD src1_sel:WORD_1
	v_lshrrev_b16_e32 v5, 1, v5
	v_add_u16_sdwa v4, v5, v4 dst_sel:DWORD dst_unused:UNUSED_PAD src0_sel:DWORD src1_sel:WORD_1
	v_lshrrev_b16_e32 v4, 6, v4
	v_mul_lo_u16_e32 v4, 0x7d, v4
	v_sub_u16_e32 v19, v23, v4
	v_lshlrev_b32_e32 v4, 4, v19
	global_load_dwordx4 v[4:7], v4, s[4:5] offset:480
	v_mul_u32_u24_sdwa v41, v26, s7 dst_sel:DWORD dst_unused:UNUSED_PAD src0_sel:WORD_0 src1_sel:DWORD
	v_sub_u16_sdwa v60, v26, v41 dst_sel:DWORD dst_unused:UNUSED_PAD src0_sel:DWORD src1_sel:WORD_1
	v_lshrrev_b16_e32 v60, 1, v60
	v_add_u16_sdwa v41, v60, v41 dst_sel:DWORD dst_unused:UNUSED_PAD src0_sel:DWORD src1_sel:WORD_1
	v_lshrrev_b16_e32 v41, 6, v41
	v_mul_lo_u16_e32 v41, 0x7d, v41
	v_sub_u16_e32 v41, v26, v41
	v_lshlrev_b32_e32 v60, 4, v41
	ds_read_u16 v64, v28 offset:1250
	ds_read_u16 v65, v28 offset:1500
	;; [unrolled: 1-line block ×4, first 2 shown]
	global_load_dwordx4 v[60:63], v60, s[4:5] offset:480
	ds_read_u16 v71, v28 offset:2750
	ds_read_u16 v72, v28 offset:2500
	;; [unrolled: 1-line block ×3, first 2 shown]
	ds_read_u16 v74, v28
	v_lshl_add_u32 v12, v12, 1, 0
	s_waitcnt vmcnt(3) lgkmcnt(7)
	v_mul_f16_sdwa v75, v64, v0 dst_sel:DWORD dst_unused:UNUSED_PAD src0_sel:DWORD src1_sel:WORD_1
	v_fma_f16 v75, v68, v0, v75
	v_mul_f16_sdwa v68, v68, v0 dst_sel:DWORD dst_unused:UNUSED_PAD src0_sel:DWORD src1_sel:WORD_1
	v_fma_f16 v64, v64, v0, -v68
	s_waitcnt lgkmcnt(2)
	v_mul_f16_sdwa v68, v72, v1 dst_sel:DWORD dst_unused:UNUSED_PAD src0_sel:DWORD src1_sel:WORD_1
	v_fma_f16 v68, v69, v1, v68
	v_mul_f16_sdwa v69, v69, v1 dst_sel:DWORD dst_unused:UNUSED_PAD src0_sel:DWORD src1_sel:WORD_1
	v_fma_f16 v69, v72, v1, -v69
	ds_read_u16 v72, v28 offset:3750
	ds_read_u16 v76, v28 offset:4000
	;; [unrolled: 1-line block ×6, first 2 shown]
	s_waitcnt lgkmcnt(5)
	v_mul_f16_sdwa v81, v72, v2 dst_sel:DWORD dst_unused:UNUSED_PAD src0_sel:DWORD src1_sel:WORD_1
	v_fma_f16 v81, v70, v2, v81
	v_mul_f16_sdwa v70, v70, v2 dst_sel:DWORD dst_unused:UNUSED_PAD src0_sel:DWORD src1_sel:WORD_1
	v_fma_f16 v70, v72, v2, -v70
	ds_read_u16 v72, v28 offset:5000
	ds_read_u16 v82, v28 offset:5250
	ds_read_u16 v83, v28 offset:5500
	ds_read_u16 v84, v28 offset:5750
	ds_read_u16 v85, v28 offset:6000
	s_waitcnt lgkmcnt(4)
	v_mul_f16_sdwa v86, v72, v3 dst_sel:DWORD dst_unused:UNUSED_PAD src0_sel:DWORD src1_sel:WORD_1
	v_fma_f16 v86, v58, v3, v86
	v_mul_f16_sdwa v58, v58, v3 dst_sel:DWORD dst_unused:UNUSED_PAD src0_sel:DWORD src1_sel:WORD_1
	v_fma_f16 v58, v72, v3, -v58
	v_mul_f16_sdwa v72, v65, v0 dst_sel:DWORD dst_unused:UNUSED_PAD src0_sel:DWORD src1_sel:WORD_1
	v_fma_f16 v72, v56, v0, v72
	v_mul_f16_sdwa v56, v56, v0 dst_sel:DWORD dst_unused:UNUSED_PAD src0_sel:DWORD src1_sel:WORD_1
	v_fma_f16 v0, v65, v0, -v56
	;; [unrolled: 4-line block ×3, first 2 shown]
	v_mul_f16_sdwa v57, v76, v2 dst_sel:DWORD dst_unused:UNUSED_PAD src0_sel:DWORD src1_sel:WORD_1
	v_fma_f16 v57, v59, v2, v57
	v_mul_f16_sdwa v59, v59, v2 dst_sel:DWORD dst_unused:UNUSED_PAD src0_sel:DWORD src1_sel:WORD_1
	ds_read_u16 v65, v28 offset:3000
	v_fma_f16 v2, v76, v2, -v59
	s_waitcnt lgkmcnt(4)
	v_mul_f16_sdwa v59, v82, v3 dst_sel:DWORD dst_unused:UNUSED_PAD src0_sel:DWORD src1_sel:WORD_1
	v_fma_f16 v59, v55, v3, v59
	v_mul_f16_sdwa v55, v55, v3 dst_sel:DWORD dst_unused:UNUSED_PAD src0_sel:DWORD src1_sel:WORD_1
	v_fma_f16 v3, v82, v3, -v55
	s_waitcnt vmcnt(2)
	v_mul_f16_sdwa v55, v66, v8 dst_sel:DWORD dst_unused:UNUSED_PAD src0_sel:DWORD src1_sel:WORD_1
	v_fma_f16 v55, v53, v8, v55
	v_mul_f16_sdwa v53, v53, v8 dst_sel:DWORD dst_unused:UNUSED_PAD src0_sel:DWORD src1_sel:WORD_1
	v_fma_f16 v8, v66, v8, -v53
	ds_read_u16 v53, v28 offset:3250
	s_waitcnt lgkmcnt(1)
	v_mul_f16_sdwa v66, v65, v9 dst_sel:DWORD dst_unused:UNUSED_PAD src0_sel:DWORD src1_sel:WORD_1
	v_fma_f16 v66, v52, v9, v66
	v_mul_f16_sdwa v52, v52, v9 dst_sel:DWORD dst_unused:UNUSED_PAD src0_sel:DWORD src1_sel:WORD_1
	v_fma_f16 v9, v65, v9, -v52
	v_mul_f16_sdwa v52, v77, v10 dst_sel:DWORD dst_unused:UNUSED_PAD src0_sel:DWORD src1_sel:WORD_1
	v_fma_f16 v52, v54, v10, v52
	v_mul_f16_sdwa v54, v54, v10 dst_sel:DWORD dst_unused:UNUSED_PAD src0_sel:DWORD src1_sel:WORD_1
	v_fma_f16 v10, v77, v10, -v54
	;; [unrolled: 4-line block ×3, first 2 shown]
	s_waitcnt vmcnt(1)
	v_mul_f16_sdwa v51, v67, v4 dst_sel:DWORD dst_unused:UNUSED_PAD src0_sel:DWORD src1_sel:WORD_1
	v_fma_f16 v51, v49, v4, v51
	v_mul_f16_sdwa v49, v49, v4 dst_sel:DWORD dst_unused:UNUSED_PAD src0_sel:DWORD src1_sel:WORD_1
	v_fma_f16 v4, v67, v4, -v49
	s_waitcnt lgkmcnt(0)
	v_mul_f16_sdwa v49, v53, v5 dst_sel:DWORD dst_unused:UNUSED_PAD src0_sel:DWORD src1_sel:WORD_1
	v_fma_f16 v49, v47, v5, v49
	v_mul_f16_sdwa v47, v47, v5 dst_sel:DWORD dst_unused:UNUSED_PAD src0_sel:DWORD src1_sel:WORD_1
	v_fma_f16 v5, v53, v5, -v47
	v_mul_f16_sdwa v47, v78, v6 dst_sel:DWORD dst_unused:UNUSED_PAD src0_sel:DWORD src1_sel:WORD_1
	v_fma_f16 v47, v50, v6, v47
	v_mul_f16_sdwa v50, v50, v6 dst_sel:DWORD dst_unused:UNUSED_PAD src0_sel:DWORD src1_sel:WORD_1
	v_fma_f16 v6, v78, v6, -v50
	;; [unrolled: 4-line block ×3, first 2 shown]
	s_waitcnt vmcnt(0)
	v_mul_f16_sdwa v45, v73, v60 dst_sel:DWORD dst_unused:UNUSED_PAD src0_sel:DWORD src1_sel:WORD_1
	v_mul_f16_sdwa v53, v80, v61 dst_sel:DWORD dst_unused:UNUSED_PAD src0_sel:DWORD src1_sel:WORD_1
	v_fma_f16 v45, v46, v60, v45
	v_mul_f16_sdwa v46, v46, v60 dst_sel:DWORD dst_unused:UNUSED_PAD src0_sel:DWORD src1_sel:WORD_1
	v_fma_f16 v53, v48, v61, v53
	v_mul_f16_sdwa v48, v48, v61 dst_sel:DWORD dst_unused:UNUSED_PAD src0_sel:DWORD src1_sel:WORD_1
	v_fma_f16 v46, v73, v60, -v46
	v_fma_f16 v48, v80, v61, -v48
	v_mul_f16_sdwa v60, v79, v62 dst_sel:DWORD dst_unused:UNUSED_PAD src0_sel:DWORD src1_sel:WORD_1
	v_mul_f16_sdwa v61, v85, v63 dst_sel:DWORD dst_unused:UNUSED_PAD src0_sel:DWORD src1_sel:WORD_1
	v_fma_f16 v60, v43, v62, v60
	v_mul_f16_sdwa v43, v43, v62 dst_sel:DWORD dst_unused:UNUSED_PAD src0_sel:DWORD src1_sel:WORD_1
	v_fma_f16 v61, v44, v63, v61
	v_mul_f16_sdwa v44, v44, v63 dst_sel:DWORD dst_unused:UNUSED_PAD src0_sel:DWORD src1_sel:WORD_1
	v_fma_f16 v43, v79, v62, -v43
	v_fma_f16 v44, v85, v63, -v44
	v_sub_f16_e32 v62, v75, v68
	v_sub_f16_e32 v63, v86, v81
	v_add_f16_e32 v62, v62, v63
	v_add_f16_e32 v63, v68, v81
	v_fma_f16 v63, v63, -0.5, v42
	v_sub_f16_e32 v65, v64, v58
	v_fma_f16 v67, v65, s0, v63
	v_sub_f16_e32 v71, v69, v70
	v_fma_f16 v63, v65, s3, v63
	v_fma_f16 v67, v71, s1, v67
	;; [unrolled: 1-line block ×5, first 2 shown]
	v_sub_f16_e32 v63, v68, v75
	v_sub_f16_e32 v73, v81, v86
	v_add_f16_e32 v63, v63, v73
	v_add_f16_e32 v73, v75, v86
	v_fma_f16 v73, v73, -0.5, v42
	v_fma_f16 v76, v71, s3, v73
	v_fma_f16 v71, v71, s0, v73
	;; [unrolled: 1-line block ×6, first 2 shown]
	v_add_f16_e32 v42, v42, v75
	v_sub_f16_e32 v65, v75, v86
	v_sub_f16_e32 v73, v64, v69
	;; [unrolled: 1-line block ×3, first 2 shown]
	v_add_f16_e32 v73, v73, v75
	v_add_f16_e32 v75, v69, v70
	v_fma_f16 v75, v75, -0.5, v74
	v_add_f16_e32 v42, v42, v68
	v_sub_f16_e32 v68, v68, v81
	v_fma_f16 v76, v65, s3, v75
	v_fma_f16 v75, v65, s0, v75
	;; [unrolled: 1-line block ×6, first 2 shown]
	v_add_f16_e32 v75, v64, v58
	v_fma_f16 v75, v75, -0.5, v74
	v_add_f16_e32 v74, v74, v64
	v_add_f16_e32 v74, v74, v69
	v_sub_f16_e32 v64, v69, v64
	v_add_f16_e32 v69, v74, v70
	v_add_f16_e32 v69, v69, v58
	v_sub_f16_e32 v58, v70, v58
	v_add_f16_e32 v58, v64, v58
	v_fma_f16 v64, v68, s0, v75
	v_fma_f16 v68, v68, s3, v75
	v_fma_f16 v64, v65, s6, v64
	v_fma_f16 v65, v65, s1, v68
	v_fma_f16 v64, v58, s2, v64
	v_fma_f16 v58, v58, s2, v65
	v_sub_f16_e32 v65, v72, v56
	v_sub_f16_e32 v68, v59, v57
	v_add_f16_e32 v65, v65, v68
	v_add_f16_e32 v68, v56, v57
	v_fma_f16 v68, v68, -0.5, v40
	v_sub_f16_e32 v70, v0, v3
	v_fma_f16 v74, v70, s0, v68
	v_sub_f16_e32 v75, v1, v2
	v_fma_f16 v68, v70, s3, v68
	v_fma_f16 v74, v75, s1, v74
	;; [unrolled: 1-line block ×5, first 2 shown]
	v_sub_f16_e32 v68, v56, v72
	v_sub_f16_e32 v77, v57, v59
	v_add_f16_e32 v68, v68, v77
	v_add_f16_e32 v77, v72, v59
	v_fma_f16 v77, v77, -0.5, v40
	v_fma_f16 v78, v75, s3, v77
	v_fma_f16 v75, v75, s0, v77
	v_add_f16_e32 v40, v40, v72
	v_fma_f16 v77, v70, s1, v78
	v_fma_f16 v70, v70, s6, v75
	v_add_f16_e32 v40, v40, v56
	;; [unrolled: 3-line block ×3, first 2 shown]
	v_sub_f16_e32 v56, v56, v57
	v_sub_f16_e32 v57, v0, v1
	v_sub_f16_e32 v70, v3, v2
	v_add_f16_e32 v40, v40, v59
	v_sub_f16_e32 v59, v72, v59
	v_add_f16_e32 v57, v57, v70
	ds_read_u16 v70, v36
	ds_read_u16 v72, v37
	;; [unrolled: 1-line block ×4, first 2 shown]
	v_add_f16_e32 v79, v1, v2
	s_waitcnt lgkmcnt(3)
	v_fma_f16 v79, v79, -0.5, v70
	v_fma_f16 v80, v59, s3, v79
	v_fma_f16 v79, v59, s0, v79
	v_fma_f16 v80, v56, s6, v80
	v_fma_f16 v79, v56, s1, v79
	v_fma_f16 v80, v57, s2, v80
	v_fma_f16 v57, v57, s2, v79
	v_add_f16_e32 v79, v0, v3
	v_fma_f16 v79, v79, -0.5, v70
	v_add_f16_e32 v70, v70, v0
	v_add_f16_e32 v70, v70, v1
	v_sub_f16_e32 v0, v1, v0
	v_add_f16_e32 v1, v70, v2
	v_sub_f16_e32 v2, v2, v3
	v_add_f16_e32 v1, v1, v3
	v_add_f16_e32 v0, v0, v2
	v_fma_f16 v2, v56, s0, v79
	v_fma_f16 v3, v56, s3, v79
	;; [unrolled: 1-line block ×6, first 2 shown]
	v_sub_f16_e32 v3, v55, v66
	v_sub_f16_e32 v56, v54, v52
	v_add_f16_e32 v3, v3, v56
	v_add_f16_e32 v56, v66, v52
	v_fma_f16 v56, v56, -0.5, v18
	v_sub_f16_e32 v59, v8, v11
	v_fma_f16 v70, v59, s0, v56
	v_sub_f16_e32 v79, v9, v10
	v_fma_f16 v56, v59, s3, v56
	v_fma_f16 v70, v79, s1, v70
	;; [unrolled: 1-line block ×3, first 2 shown]
	v_add_f16_e32 v42, v42, v81
	v_fma_f16 v70, v3, s2, v70
	v_fma_f16 v3, v3, s2, v56
	v_sub_f16_e32 v56, v66, v55
	v_sub_f16_e32 v81, v52, v54
	v_add_f16_e32 v56, v56, v81
	v_add_f16_e32 v81, v55, v54
	v_fma_f16 v81, v81, -0.5, v18
	v_add_f16_e32 v18, v18, v55
	v_fma_f16 v82, v79, s3, v81
	v_fma_f16 v79, v79, s0, v81
	v_add_f16_e32 v18, v18, v66
	v_fma_f16 v81, v59, s1, v82
	v_fma_f16 v59, v59, s6, v79
	;; [unrolled: 3-line block ×3, first 2 shown]
	v_add_f16_e32 v18, v18, v54
	v_sub_f16_e32 v54, v55, v54
	v_sub_f16_e32 v55, v8, v9
	;; [unrolled: 1-line block ×3, first 2 shown]
	v_add_f16_e32 v55, v55, v59
	v_add_f16_e32 v59, v9, v10
	s_waitcnt lgkmcnt(2)
	v_fma_f16 v59, v59, -0.5, v72
	v_sub_f16_e32 v52, v66, v52
	v_fma_f16 v66, v54, s3, v59
	v_fma_f16 v59, v54, s0, v59
	;; [unrolled: 1-line block ×6, first 2 shown]
	v_add_f16_e32 v59, v8, v11
	v_fma_f16 v59, v59, -0.5, v72
	v_add_f16_e32 v72, v72, v8
	v_add_f16_e32 v72, v72, v9
	v_sub_f16_e32 v8, v9, v8
	v_add_f16_e32 v9, v72, v10
	v_add_f16_e32 v72, v9, v11
	v_sub_f16_e32 v9, v10, v11
	v_add_f16_e32 v8, v8, v9
	v_fma_f16 v9, v52, s0, v59
	v_fma_f16 v10, v52, s3, v59
	;; [unrolled: 1-line block ×6, first 2 shown]
	v_sub_f16_e32 v8, v51, v49
	v_sub_f16_e32 v9, v50, v47
	v_add_f16_e32 v8, v8, v9
	v_add_f16_e32 v9, v49, v47
	v_fma_f16 v9, v9, -0.5, v17
	v_sub_f16_e32 v10, v4, v7
	v_fma_f16 v11, v10, s0, v9
	v_sub_f16_e32 v52, v5, v6
	v_fma_f16 v9, v10, s3, v9
	v_fma_f16 v11, v52, s1, v11
	;; [unrolled: 1-line block ×5, first 2 shown]
	v_sub_f16_e32 v9, v49, v51
	v_sub_f16_e32 v81, v47, v50
	v_add_f16_e32 v9, v9, v81
	v_add_f16_e32 v81, v51, v50
	v_fma_f16 v81, v81, -0.5, v17
	v_fma_f16 v82, v52, s3, v81
	v_fma_f16 v52, v52, s0, v81
	;; [unrolled: 1-line block ×6, first 2 shown]
	v_add_f16_e32 v10, v17, v51
	v_add_f16_e32 v10, v10, v49
	;; [unrolled: 1-line block ×4, first 2 shown]
	v_sub_f16_e32 v17, v51, v50
	v_sub_f16_e32 v47, v49, v47
	;; [unrolled: 1-line block ×4, first 2 shown]
	v_add_f16_e32 v49, v49, v50
	v_add_f16_e32 v50, v5, v6
	s_waitcnt lgkmcnt(1)
	v_fma_f16 v50, v50, -0.5, v77
	v_fma_f16 v51, v17, s3, v50
	v_fma_f16 v50, v17, s0, v50
	;; [unrolled: 1-line block ×5, first 2 shown]
	v_add_f16_e32 v50, v77, v4
	v_fma_f16 v81, v49, s2, v51
	v_add_f16_e32 v49, v4, v7
	v_add_f16_e32 v50, v50, v5
	v_fma_f16 v49, v49, -0.5, v77
	v_sub_f16_e32 v4, v5, v4
	v_add_f16_e32 v5, v50, v6
	v_sub_f16_e32 v6, v6, v7
	v_add_f16_e32 v5, v5, v7
	v_add_f16_e32 v4, v4, v6
	v_fma_f16 v6, v47, s0, v49
	v_fma_f16 v7, v47, s3, v49
	;; [unrolled: 1-line block ×6, first 2 shown]
	v_sub_f16_e32 v7, v45, v53
	v_sub_f16_e32 v17, v61, v60
	v_add_f16_e32 v7, v7, v17
	v_add_f16_e32 v17, v53, v60
	v_fma_f16 v17, v17, -0.5, v16
	v_sub_f16_e32 v47, v46, v44
	v_fma_f16 v49, v47, s0, v17
	v_sub_f16_e32 v50, v48, v43
	v_fma_f16 v17, v47, s3, v17
	v_fma_f16 v49, v50, s1, v49
	;; [unrolled: 1-line block ×5, first 2 shown]
	v_sub_f16_e32 v17, v53, v45
	v_sub_f16_e32 v51, v60, v61
	v_add_f16_e32 v17, v17, v51
	v_add_f16_e32 v51, v45, v61
	v_fma_f16 v51, v51, -0.5, v16
	v_fma_f16 v77, v50, s3, v51
	v_fma_f16 v50, v50, s0, v51
	;; [unrolled: 1-line block ×4, first 2 shown]
	v_add_f16_e32 v16, v16, v45
	v_fma_f16 v50, v17, s2, v51
	v_fma_f16 v17, v17, s2, v47
	v_add_f16_e32 v16, v16, v53
	v_sub_f16_e32 v47, v53, v60
	v_sub_f16_e32 v51, v46, v48
	;; [unrolled: 1-line block ×3, first 2 shown]
	v_add_f16_e32 v51, v51, v53
	v_add_f16_e32 v53, v48, v43
	v_sub_f16_e32 v45, v45, v61
	s_waitcnt lgkmcnt(0)
	v_fma_f16 v53, v53, -0.5, v78
	v_add_f16_e32 v16, v16, v60
	v_fma_f16 v60, v45, s3, v53
	v_fma_f16 v53, v45, s0, v53
	v_add_f16_e32 v16, v16, v61
	v_fma_f16 v60, v47, s6, v60
	v_fma_f16 v53, v47, s1, v53
	;; [unrolled: 3-line block ×3, first 2 shown]
	v_add_f16_e32 v51, v46, v44
	v_add_f16_e32 v61, v61, v48
	v_fma_f16 v51, v51, -0.5, v78
	v_sub_f16_e32 v46, v48, v46
	v_add_f16_e32 v48, v61, v43
	v_sub_f16_e32 v43, v43, v44
	v_add_f16_e32 v42, v42, v86
	v_add_f16_e32 v61, v48, v44
	v_add_f16_e32 v43, v46, v43
	v_fma_f16 v44, v47, s0, v51
	v_fma_f16 v46, v47, s3, v51
	;; [unrolled: 1-line block ×4, first 2 shown]
	s_barrier
	ds_write_b16 v28, v42
	ds_write_b16 v28, v67 offset:250
	ds_write_b16 v28, v71 offset:500
	;; [unrolled: 1-line block ×14, first 2 shown]
	v_lshl_add_u32 v3, v19, 1, 0
	v_lshl_add_u32 v56, v41, 1, 0
	v_fma_f16 v77, v43, s2, v44
	v_fma_f16 v78, v43, s2, v45
	ds_write_b16 v3, v10 offset:3750
	ds_write_b16 v3, v11 offset:4000
	;; [unrolled: 1-line block ×10, first 2 shown]
	s_waitcnt lgkmcnt(0)
	s_barrier
	ds_read_u16 v40, v37
	ds_read_u16 v44, v38
	;; [unrolled: 1-line block ×3, first 2 shown]
	ds_read_u16 v9, v28 offset:1250
	ds_read_u16 v18, v28 offset:1500
	;; [unrolled: 1-line block ×6, first 2 shown]
	ds_read_u16 v49, v39
	ds_read_u16 v10, v28 offset:5000
	ds_read_u16 v19, v28 offset:5250
	;; [unrolled: 1-line block ×13, first 2 shown]
	ds_read_u16 v17, v36
	ds_read_u16 v36, v28 offset:6000
	s_waitcnt lgkmcnt(0)
	s_barrier
	ds_write_b16 v28, v69
	ds_write_b16 v28, v76 offset:250
	ds_write_b16 v28, v64 offset:500
	;; [unrolled: 1-line block ×24, first 2 shown]
	s_waitcnt lgkmcnt(0)
	s_barrier
	s_and_saveexec_b64 s[10:11], vcc
	s_cbranch_execz .LBB0_15
; %bb.14:
	v_lshlrev_b32_e32 v12, 2, v26
	v_lshl_add_u64 v[0:1], v[12:13], 2, s[4:5]
	global_load_dwordx4 v[0:3], v[0:1], off offset:2480
	v_lshlrev_b32_e32 v12, 2, v23
	v_lshl_add_u64 v[4:5], v[12:13], 2, s[4:5]
	v_sub_u32_e32 v26, 0, v32
	v_sub_u32_e32 v32, 0, v33
	;; [unrolled: 1-line block ×3, first 2 shown]
	ds_read_u16 v59, v28 offset:2750
	ds_read_u16 v60, v28 offset:2500
	;; [unrolled: 1-line block ×6, first 2 shown]
	global_load_dwordx4 v[54:57], v[4:5], off offset:2480
	v_sub_u32_e32 v6, 0, v35
	v_add_u32_e32 v4, v31, v6
	v_add_u32_e32 v29, v29, v32
	;; [unrolled: 1-line block ×3, first 2 shown]
	ds_read_u16 v12, v28 offset:4750
	ds_read_u16 v63, v28 offset:4500
	;; [unrolled: 1-line block ×5, first 2 shown]
	ds_read_u16 v23, v4
	ds_read_u16 v67, v28 offset:3250
	ds_read_u16 v29, v29
	ds_read_u16 v26, v26
	global_load_dwordx4 v[4:7], v[14:15], off offset:2480
	ds_read_u16 v15, v28 offset:3500
	v_add_u32_e32 v30, v30, v58
	ds_read_u16 v30, v30
	s_waitcnt vmcnt(2)
	v_mul_f16_sdwa v14, v52, v1 dst_sel:DWORD dst_unused:UNUSED_PAD src0_sel:DWORD src1_sel:WORD_1
	v_mul_f16_sdwa v31, v50, v0 dst_sel:DWORD dst_unused:UNUSED_PAD src0_sel:DWORD src1_sel:WORD_1
	;; [unrolled: 1-line block ×4, first 2 shown]
	s_waitcnt lgkmcnt(14)
	v_mul_f16_sdwa v70, v33, v0 dst_sel:DWORD dst_unused:UNUSED_PAD src0_sel:DWORD src1_sel:WORD_1
	s_waitcnt lgkmcnt(12)
	v_mul_f16_sdwa v71, v34, v3 dst_sel:DWORD dst_unused:UNUSED_PAD src0_sel:DWORD src1_sel:WORD_1
	;; [unrolled: 2-line block ×3, first 2 shown]
	v_mul_f16_sdwa v69, v12, v2 dst_sel:DWORD dst_unused:UNUSED_PAD src0_sel:DWORD src1_sel:WORD_1
	v_fma_f16 v14, v1, v15, -v14
	v_fma_f16 v15, v0, v33, -v31
	;; [unrolled: 1-line block ×4, first 2 shown]
	v_fma_f16 v50, v50, v0, v70
	v_fma_f16 v36, v36, v3, v71
	;; [unrolled: 1-line block ×4, first 2 shown]
	v_sub_f16_e32 v0, v14, v15
	v_sub_f16_e32 v1, v12, v31
	v_add_f16_e32 v3, v15, v31
	v_sub_f16_e32 v51, v15, v14
	v_add_f16_e32 v53, v14, v12
	v_add_f16_e32 v68, v15, v23
	v_sub_f16_e32 v71, v15, v31
	v_add_f16_e32 v15, v50, v36
	v_sub_f16_e32 v2, v34, v35
	v_sub_f16_e32 v33, v50, v36
	;; [unrolled: 1-line block ×6, first 2 shown]
	v_add_f16_e32 v0, v0, v1
	v_fma_f16 v1, v3, -0.5, v23
	v_fma_f16 v23, v53, -0.5, v23
	v_add_f16_e32 v14, v14, v68
	v_fma_f16 v15, v15, -0.5, v49
	v_add_f16_e32 v75, v34, v35
	v_add_f16_e32 v3, v51, v52
	;; [unrolled: 1-line block ×3, first 2 shown]
	v_fma_f16 v68, v2, s3, v1
	v_fma_f16 v1, v2, s0, v1
	;; [unrolled: 1-line block ×4, first 2 shown]
	v_add_f16_e32 v12, v12, v14
	v_fma_f16 v14, v72, s0, v15
	v_fma_f16 v53, v75, -0.5, v49
	v_fma_f16 v68, v33, s1, v68
	v_fma_f16 v1, v33, s6, v1
	;; [unrolled: 1-line block ×4, first 2 shown]
	v_add_f16_e32 v31, v31, v12
	v_fma_f16 v12, v71, s6, v14
	v_sub_f16_e32 v73, v50, v34
	v_sub_f16_e32 v74, v36, v35
	v_fma_f16 v2, v0, s2, v68
	v_fma_f16 v14, v0, s2, v1
	;; [unrolled: 1-line block ×6, first 2 shown]
	v_add_f16_e32 v52, v73, v74
	v_fma_f16 v12, v72, s1, v12
	v_fma_f16 v33, v52, s2, v12
	v_add_f16_e32 v12, v49, v50
	v_add_f16_e32 v12, v34, v12
	;; [unrolled: 1-line block ×3, first 2 shown]
	v_fma_f16 v15, v72, s3, v15
	v_fma_f16 v70, v71, s3, v53
	v_add_f16_e32 v36, v12, v36
	v_lshlrev_b32_e32 v12, 2, v22
	v_fma_f16 v15, v71, s1, v15
	v_fma_f16 v1, v72, s6, v70
	s_waitcnt vmcnt(1)
	v_mul_f16_sdwa v49, v47, v55 dst_sel:DWORD dst_unused:UNUSED_PAD src0_sel:DWORD src1_sel:WORD_1
	v_lshl_add_u64 v[34:35], v[12:13], 2, s[4:5]
	v_fma_f16 v15, v51, s2, v15
	v_fma_f16 v1, v52, s2, v1
	global_load_dwordx4 v[50:53], v[34:35], off offset:2480
	v_fma_f16 v12, v55, v67, -v49
	v_mul_f16_sdwa v34, v45, v54 dst_sel:DWORD dst_unused:UNUSED_PAD src0_sel:DWORD src1_sel:WORD_1
	v_mul_f16_sdwa v69, v46, v57 dst_sel:DWORD dst_unused:UNUSED_PAD src0_sel:DWORD src1_sel:WORD_1
	;; [unrolled: 1-line block ×3, first 2 shown]
	v_fma_f16 v34, v54, v61, -v34
	v_mul_f16_sdwa v68, v48, v56 dst_sel:DWORD dst_unused:UNUSED_PAD src0_sel:DWORD src1_sel:WORD_1
	v_fma_f16 v69, v57, v62, -v69
	v_fma_f16 v55, v47, v55, v67
	v_mul_f16_sdwa v47, v63, v56 dst_sel:DWORD dst_unused:UNUSED_PAD src0_sel:DWORD src1_sel:WORD_1
	v_mul_f16_sdwa v61, v61, v54 dst_sel:DWORD dst_unused:UNUSED_PAD src0_sel:DWORD src1_sel:WORD_1
	v_fma_f16 v68, v56, v63, -v68
	v_fma_f16 v48, v48, v56, v47
	v_add_f16_e32 v56, v34, v69
	v_fma_f16 v45, v45, v54, v61
	v_mul_f16_sdwa v54, v62, v57 dst_sel:DWORD dst_unused:UNUSED_PAD src0_sel:DWORD src1_sel:WORD_1
	v_sub_f16_e32 v47, v55, v48
	s_waitcnt lgkmcnt(0)
	v_fma_f16 v56, v56, -0.5, v30
	v_fma_f16 v54, v46, v57, v54
	v_sub_f16_e32 v49, v12, v34
	v_sub_f16_e32 v71, v68, v69
	v_fma_f16 v58, v47, s3, v56
	v_sub_f16_e32 v46, v45, v54
	v_fma_f16 v56, v47, s0, v56
	v_add_f16_e32 v49, v49, v71
	v_fma_f16 v57, v46, s1, v58
	v_fma_f16 v56, v46, s6, v56
	;; [unrolled: 1-line block ×4, first 2 shown]
	v_sub_f16_e32 v56, v34, v12
	v_sub_f16_e32 v58, v69, v68
	v_add_f16_e32 v56, v56, v58
	v_add_f16_e32 v58, v12, v68
	v_fma_f16 v58, v58, -0.5, v30
	v_fma_f16 v61, v46, s0, v58
	v_fma_f16 v46, v46, s3, v58
	;; [unrolled: 1-line block ×6, first 2 shown]
	v_sub_f16_e32 v46, v55, v45
	v_sub_f16_e32 v47, v48, v54
	v_add_f16_e32 v30, v34, v30
	v_add_f16_e32 v46, v46, v47
	;; [unrolled: 1-line block ×4, first 2 shown]
	v_fma_f16 v47, v47, -0.5, v44
	v_sub_f16_e32 v12, v12, v68
	v_sub_f16_e32 v34, v34, v69
	v_fma_f16 v58, v12, s0, v47
	v_fma_f16 v47, v12, s3, v47
	v_fma_f16 v58, v34, s6, v58
	v_fma_f16 v47, v34, s1, v47
	v_fma_f16 v58, v46, s2, v58
	v_fma_f16 v62, v46, s2, v47
	v_sub_f16_e32 v46, v45, v55
	v_sub_f16_e32 v47, v54, v48
	v_add_f16_e32 v46, v46, v47
	v_add_f16_e32 v47, v55, v48
	v_fma_f16 v47, v47, -0.5, v44
	v_fma_f16 v63, v34, s3, v47
	v_fma_f16 v34, v34, s0, v47
	;; [unrolled: 1-line block ×5, first 2 shown]
	v_lshlrev_b32_e32 v12, 2, v25
	v_lshl_add_u64 v[12:13], v[12:13], 2, s[4:5]
	v_fma_f16 v63, v46, s2, v63
	v_add_f16_e32 v67, v44, v45
	global_load_dwordx4 v[44:47], v[12:13], off offset:2480
	ds_read_u16 v22, v28 offset:3000
	ds_read_u16 v70, v28 offset:5500
	v_add_f16_e32 v30, v68, v30
	ds_read_u16 v68, v28 offset:5250
	ds_read_u16 v35, v28 offset:1750
	v_add_f16_e32 v12, v55, v67
	v_add_f16_e32 v12, v12, v48
	ds_read_u16 v48, v28 offset:1500
	v_add_f16_e32 v12, v12, v54
	v_add_f16_e32 v30, v69, v30
	s_waitcnt vmcnt(1)
	v_mul_f16_sdwa v13, v42, v51 dst_sel:DWORD dst_unused:UNUSED_PAD src0_sel:DWORD src1_sel:WORD_1
	v_mul_f16_sdwa v25, v41, v50 dst_sel:DWORD dst_unused:UNUSED_PAD src0_sel:DWORD src1_sel:WORD_1
	;; [unrolled: 1-line block ×3, first 2 shown]
	s_waitcnt lgkmcnt(4)
	v_fma_f16 v13, v51, v22, -v13
	s_waitcnt lgkmcnt(1)
	v_fma_f16 v25, v50, v35, -v25
	v_fma_f16 v67, v53, v70, -v67
	v_mul_f16_sdwa v22, v22, v51 dst_sel:DWORD dst_unused:UNUSED_PAD src0_sel:DWORD src1_sel:WORD_1
	v_mul_f16_sdwa v32, v64, v52 dst_sel:DWORD dst_unused:UNUSED_PAD src0_sel:DWORD src1_sel:WORD_1
	;; [unrolled: 1-line block ×4, first 2 shown]
	v_fma_f16 v22, v42, v51, v22
	v_fma_f16 v32, v43, v52, v32
	v_add_f16_e32 v43, v25, v67
	v_fma_f16 v35, v41, v50, v35
	v_mul_f16_sdwa v41, v70, v53 dst_sel:DWORD dst_unused:UNUSED_PAD src0_sel:DWORD src1_sel:WORD_1
	v_sub_f16_e32 v42, v22, v32
	v_fma_f16 v43, v43, -0.5, v29
	v_fma_f16 v39, v39, v53, v41
	v_fma_f16 v55, v52, v64, -v55
	v_fma_f16 v51, v42, s3, v43
	v_sub_f16_e32 v41, v35, v39
	v_fma_f16 v50, v41, s1, v51
	v_sub_f16_e32 v51, v25, v13
	v_sub_f16_e32 v52, v67, v55
	v_add_f16_e32 v51, v51, v52
	v_add_f16_e32 v52, v13, v55
	v_fma_f16 v43, v42, s0, v43
	v_fma_f16 v52, v52, -0.5, v29
	v_fma_f16 v43, v41, s6, v43
	v_fma_f16 v53, v41, s0, v52
	;; [unrolled: 1-line block ×7, first 2 shown]
	v_sub_f16_e32 v42, v22, v35
	v_sub_f16_e32 v51, v32, v39
	v_add_f16_e32 v29, v25, v29
	v_add_f16_e32 v42, v42, v51
	;; [unrolled: 1-line block ×3, first 2 shown]
	v_sub_f16_e32 v54, v13, v25
	v_add_f16_e32 v29, v13, v29
	v_fma_f16 v51, v51, -0.5, v40
	v_sub_f16_e32 v13, v13, v55
	v_sub_f16_e32 v69, v55, v67
	v_sub_f16_e32 v25, v25, v67
	v_fma_f16 v52, v13, s0, v51
	v_fma_f16 v51, v13, s3, v51
	v_add_f16_e32 v54, v54, v69
	v_fma_f16 v52, v25, s6, v52
	v_fma_f16 v51, v25, s1, v51
	;; [unrolled: 1-line block ×6, first 2 shown]
	v_sub_f16_e32 v51, v35, v22
	v_sub_f16_e32 v54, v39, v32
	v_add_f16_e32 v51, v51, v54
	v_add_f16_e32 v54, v22, v32
	v_fma_f16 v54, v54, -0.5, v40
	v_add_f16_e32 v29, v55, v29
	v_fma_f16 v55, v25, s3, v54
	v_fma_f16 v25, v25, s0, v54
	;; [unrolled: 1-line block ×4, first 2 shown]
	v_add_f16_e32 v25, v40, v35
	ds_read_u16 v35, v28 offset:1250
	v_add_f16_e32 v22, v22, v25
	v_fma_f16 v55, v51, s2, v55
	v_fma_f16 v13, v51, s2, v13
	v_add_f16_e32 v22, v22, v32
	s_waitcnt vmcnt(0)
	v_mul_f16_sdwa v25, v37, v45 dst_sel:DWORD dst_unused:UNUSED_PAD src0_sel:DWORD src1_sel:WORD_1
	v_mul_f16_sdwa v32, v18, v44 dst_sel:DWORD dst_unused:UNUSED_PAD src0_sel:DWORD src1_sel:WORD_1
	;; [unrolled: 1-line block ×3, first 2 shown]
	v_fma_f16 v25, v45, v59, -v25
	s_waitcnt lgkmcnt(1)
	v_fma_f16 v32, v44, v48, -v32
	v_fma_f16 v51, v47, v68, -v51
	v_mul_f16_sdwa v59, v59, v45 dst_sel:DWORD dst_unused:UNUSED_PAD src0_sel:DWORD src1_sel:WORD_1
	v_mul_f16_sdwa v27, v65, v46 dst_sel:DWORD dst_unused:UNUSED_PAD src0_sel:DWORD src1_sel:WORD_1
	;; [unrolled: 1-line block ×4, first 2 shown]
	v_fma_f16 v37, v37, v45, v59
	v_fma_f16 v27, v38, v46, v27
	v_add_f16_e32 v45, v32, v51
	v_fma_f16 v18, v18, v44, v48
	v_mul_f16_sdwa v44, v68, v47 dst_sel:DWORD dst_unused:UNUSED_PAD src0_sel:DWORD src1_sel:WORD_1
	v_fma_f16 v40, v46, v65, -v40
	v_sub_f16_e32 v38, v37, v27
	v_fma_f16 v45, v45, -0.5, v26
	v_fma_f16 v19, v19, v47, v44
	v_add_f16_e32 v22, v22, v39
	v_sub_f16_e32 v39, v25, v32
	v_sub_f16_e32 v64, v40, v51
	v_fma_f16 v46, v38, s3, v45
	v_sub_f16_e32 v44, v18, v19
	v_fma_f16 v45, v38, s0, v45
	v_add_f16_e32 v39, v39, v64
	v_fma_f16 v46, v44, s1, v46
	v_fma_f16 v45, v44, s6, v45
	;; [unrolled: 1-line block ×4, first 2 shown]
	v_sub_f16_e32 v45, v32, v25
	v_sub_f16_e32 v47, v51, v40
	v_add_f16_e32 v45, v45, v47
	v_add_f16_e32 v47, v25, v40
	v_fma_f16 v47, v47, -0.5, v26
	v_fma_f16 v48, v44, s0, v47
	v_fma_f16 v44, v44, s3, v47
	;; [unrolled: 1-line block ×6, first 2 shown]
	v_sub_f16_e32 v44, v37, v18
	v_sub_f16_e32 v45, v27, v19
	v_add_f16_e32 v26, v32, v26
	v_add_f16_e32 v44, v44, v45
	;; [unrolled: 1-line block ×4, first 2 shown]
	v_fma_f16 v45, v45, -0.5, v17
	v_sub_f16_e32 v25, v25, v40
	v_add_f16_e32 v26, v40, v26
	v_sub_f16_e32 v32, v32, v51
	v_fma_f16 v40, v25, s0, v45
	v_fma_f16 v45, v25, s3, v45
	v_fma_f16 v40, v32, s6, v40
	v_fma_f16 v45, v32, s1, v45
	v_fma_f16 v40, v44, s2, v40
	v_fma_f16 v44, v44, s2, v45
	v_sub_f16_e32 v45, v18, v37
	v_sub_f16_e32 v47, v19, v27
	ds_read_u16 v54, v28 offset:5000
	v_add_f16_e32 v45, v45, v47
	v_add_f16_e32 v47, v37, v27
	v_fma_f16 v47, v47, -0.5, v17
	v_add_f16_e32 v17, v17, v18
	v_add_f16_e32 v17, v37, v17
	;; [unrolled: 1-line block ×3, first 2 shown]
	v_fma_f16 v51, v32, s3, v47
	v_fma_f16 v32, v32, s0, v47
	v_add_f16_e32 v17, v17, v27
	ds_read_u16 v27, v28
	v_fma_f16 v51, v25, s6, v51
	v_fma_f16 v25, v25, s1, v32
	v_add_f16_e32 v17, v17, v19
	v_mul_f16_sdwa v18, v11, v5 dst_sel:DWORD dst_unused:UNUSED_PAD src0_sel:DWORD src1_sel:WORD_1
	v_mul_f16_sdwa v19, v9, v4 dst_sel:DWORD dst_unused:UNUSED_PAD src0_sel:DWORD src1_sel:WORD_1
	;; [unrolled: 1-line block ×4, first 2 shown]
	v_fma_f16 v18, v5, v60, -v18
	s_waitcnt lgkmcnt(2)
	v_fma_f16 v19, v4, v35, -v19
	v_fma_f16 v32, v6, v66, -v32
	s_waitcnt lgkmcnt(1)
	v_fma_f16 v37, v7, v54, -v37
	v_fma_f16 v51, v45, s2, v51
	v_fma_f16 v25, v45, s2, v25
	v_sub_f16_e32 v28, v18, v19
	v_sub_f16_e32 v45, v32, v37
	v_add_f16_e32 v28, v28, v45
	v_mul_f16_sdwa v45, v60, v5 dst_sel:DWORD dst_unused:UNUSED_PAD src0_sel:DWORD src1_sel:WORD_1
	v_fma_f16 v5, v11, v5, v45
	v_mul_f16_sdwa v11, v66, v6 dst_sel:DWORD dst_unused:UNUSED_PAD src0_sel:DWORD src1_sel:WORD_1
	v_mul_f16_sdwa v35, v35, v4 dst_sel:DWORD dst_unused:UNUSED_PAD src0_sel:DWORD src1_sel:WORD_1
	v_fma_f16 v6, v16, v6, v11
	v_add_f16_e32 v16, v19, v37
	v_fma_f16 v4, v9, v4, v35
	v_mul_f16_sdwa v9, v54, v7 dst_sel:DWORD dst_unused:UNUSED_PAD src0_sel:DWORD src1_sel:WORD_1
	v_sub_f16_e32 v11, v5, v6
	s_waitcnt lgkmcnt(0)
	v_fma_f16 v16, v16, -0.5, v27
	v_fma_f16 v7, v10, v7, v9
	v_fma_f16 v45, v11, s3, v16
	v_sub_f16_e32 v9, v4, v7
	v_fma_f16 v16, v11, s0, v16
	v_fma_f16 v10, v9, s1, v45
	;; [unrolled: 1-line block ×5, first 2 shown]
	v_sub_f16_e32 v28, v19, v18
	v_sub_f16_e32 v35, v37, v32
	v_add_f16_e32 v28, v28, v35
	v_add_f16_e32 v35, v18, v32
	v_fma_f16 v35, v35, -0.5, v27
	v_fma_f16 v45, v9, s0, v35
	v_fma_f16 v9, v9, s3, v35
	;; [unrolled: 1-line block ×6, first 2 shown]
	v_add_f16_e32 v11, v19, v27
	v_sub_f16_e32 v27, v5, v4
	v_sub_f16_e32 v28, v6, v7
	v_add_f16_e32 v27, v27, v28
	v_add_f16_e32 v28, v4, v7
	;; [unrolled: 1-line block ×3, first 2 shown]
	v_fma_f16 v28, v28, -0.5, v8
	v_sub_f16_e32 v18, v18, v32
	v_add_f16_e32 v11, v32, v11
	v_sub_f16_e32 v19, v19, v37
	v_fma_f16 v32, v18, s0, v28
	v_fma_f16 v28, v18, s3, v28
	;; [unrolled: 1-line block ×6, first 2 shown]
	v_sub_f16_e32 v28, v4, v5
	v_sub_f16_e32 v35, v7, v6
	v_add_f16_e32 v28, v28, v35
	v_add_f16_e32 v35, v5, v6
	;; [unrolled: 1-line block ×3, first 2 shown]
	v_fma_f16 v35, v35, -0.5, v8
	v_add_f16_e32 v4, v5, v4
	v_add_f16_e32 v11, v37, v11
	v_fma_f16 v37, v19, s3, v35
	v_fma_f16 v19, v19, s0, v35
	v_add_f16_e32 v4, v4, v6
	v_fma_f16 v37, v18, s6, v37
	v_fma_f16 v18, v18, s1, v19
	v_add_f16_e32 v8, v4, v7
	v_mad_u64_u32 v[4:5], s[0:1], s8, v24, 0
	v_mov_b32_e32 v6, v5
	v_mad_u64_u32 v[6:7], s[0:1], s9, v24, v[6:7]
	v_mov_b32_e32 v5, v6
	v_lshl_add_u64 v[4:5], v[4:5], 2, v[20:21]
	v_pack_b32_f16 v6, v8, v11
	v_add_u32_e32 v7, 0x271, v24
	global_store_dword v[4:5], v6, off
	v_mad_u64_u32 v[4:5], s[0:1], s8, v7, 0
	v_mov_b32_e32 v6, v5
	v_mad_u64_u32 v[6:7], s[0:1], s9, v7, v[6:7]
	v_fma_f16 v18, v28, s2, v18
	v_mov_b32_e32 v5, v6
	v_lshl_add_u64 v[4:5], v[4:5], 2, v[20:21]
	v_pack_b32_f16 v6, v18, v9
	v_add_u32_e32 v7, 0x4e2, v24
	global_store_dword v[4:5], v6, off
	v_mad_u64_u32 v[4:5], s[0:1], s8, v7, 0
	v_mov_b32_e32 v6, v5
	v_mad_u64_u32 v[6:7], s[0:1], s9, v7, v[6:7]
	v_mov_b32_e32 v5, v6
	v_lshl_add_u64 v[4:5], v[4:5], 2, v[20:21]
	v_pack_b32_f16 v6, v27, v16
	v_add_u32_e32 v7, 0x753, v24
	global_store_dword v[4:5], v6, off
	v_mad_u64_u32 v[4:5], s[0:1], s8, v7, 0
	v_mov_b32_e32 v6, v5
	v_mad_u64_u32 v[6:7], s[0:1], s9, v7, v[6:7]
	;; [unrolled: 8-line block ×3, first 2 shown]
	v_fma_f16 v37, v28, s2, v37
	v_mov_b32_e32 v5, v6
	v_lshl_add_u64 v[4:5], v[4:5], 2, v[20:21]
	v_pack_b32_f16 v6, v37, v45
	v_add_u32_e32 v7, 0x7d, v24
	global_store_dword v[4:5], v6, off
	v_mad_u64_u32 v[4:5], s[0:1], s8, v7, 0
	v_mov_b32_e32 v6, v5
	v_mad_u64_u32 v[6:7], s[0:1], s9, v7, v[6:7]
	v_mov_b32_e32 v5, v6
	v_lshl_add_u64 v[4:5], v[4:5], 2, v[20:21]
	v_pack_b32_f16 v6, v17, v26
	v_add_u32_e32 v7, 0x2ee, v24
	global_store_dword v[4:5], v6, off
	v_mad_u64_u32 v[4:5], s[0:1], s8, v7, 0
	v_mov_b32_e32 v6, v5
	v_mad_u64_u32 v[6:7], s[0:1], s9, v7, v[6:7]
	;; [unrolled: 8-line block ×6, first 2 shown]
	v_add_f16_e32 v29, v67, v29
	v_mov_b32_e32 v5, v6
	v_lshl_add_u64 v[4:5], v[4:5], 2, v[20:21]
	v_pack_b32_f16 v6, v22, v29
	v_add_u32_e32 v7, 0x36b, v24
	global_store_dword v[4:5], v6, off
	v_mad_u64_u32 v[4:5], s[0:1], s8, v7, 0
	v_mov_b32_e32 v6, v5
	v_mad_u64_u32 v[6:7], s[0:1], s9, v7, v[6:7]
	v_mov_b32_e32 v5, v6
	v_lshl_add_u64 v[4:5], v[4:5], 2, v[20:21]
	v_pack_b32_f16 v6, v13, v41
	v_add_u32_e32 v7, 0x5dc, v24
	global_store_dword v[4:5], v6, off
	v_mad_u64_u32 v[4:5], s[0:1], s8, v7, 0
	v_mov_b32_e32 v6, v5
	v_mad_u64_u32 v[6:7], s[0:1], s9, v7, v[6:7]
	;; [unrolled: 8-line block ×9, first 2 shown]
	v_mov_b32_e32 v5, v6
	v_lshl_add_u64 v[4:5], v[4:5], 2, v[20:21]
	v_pack_b32_f16 v6, v63, v61
	global_store_dword v[4:5], v6, off
	v_add_u32_e32 v4, 0x1f4, v24
	s_mov_b32 s0, 0xd1b71759
	v_mul_hi_u32 v5, v4, s0
	s_movk_i32 s2, 0x9c4
	v_lshrrev_b32_e32 v5, 9, v5
	v_mad_u32_u24 v8, v5, s2, v4
	v_mad_u64_u32 v[4:5], s[0:1], s8, v8, 0
	v_mov_b32_e32 v6, v5
	v_mad_u64_u32 v[6:7], s[0:1], s9, v8, v[6:7]
	v_mov_b32_e32 v5, v6
	v_lshl_add_u64 v[4:5], v[4:5], 2, v[20:21]
	v_pack_b32_f16 v6, v36, v31
	v_add_u32_e32 v7, 0x271, v8
	global_store_dword v[4:5], v6, off
	v_mad_u64_u32 v[4:5], s[0:1], s8, v7, 0
	v_mov_b32_e32 v6, v5
	v_mad_u64_u32 v[6:7], s[0:1], s9, v7, v[6:7]
	v_mov_b32_e32 v5, v6
	v_lshl_add_u64 v[4:5], v[4:5], 2, v[20:21]
	v_pack_b32_f16 v6, v33, v23
	v_add_u32_e32 v7, 0x4e2, v8
	global_store_dword v[4:5], v6, off
	;; [unrolled: 8-line block ×3, first 2 shown]
	v_mad_u64_u32 v[4:5], s[0:1], s8, v7, 0
	v_mov_b32_e32 v6, v5
	v_mad_u64_u32 v[6:7], s[0:1], s9, v7, v[6:7]
	v_mov_b32_e32 v5, v6
	v_lshl_add_u64 v[4:5], v[4:5], 2, v[20:21]
	v_pack_b32_f16 v2, v3, v2
	global_store_dword v[4:5], v2, off
	v_add_u32_e32 v5, 0x9c4, v8
	v_mad_u64_u32 v[2:3], s[0:1], s8, v5, 0
	v_mov_b32_e32 v4, v3
	v_mad_u64_u32 v[4:5], s[0:1], s9, v5, v[4:5]
	v_mov_b32_e32 v3, v4
	v_lshl_add_u64 v[2:3], v[2:3], 2, v[20:21]
	v_pack_b32_f16 v0, v1, v0
	global_store_dword v[2:3], v0, off
.LBB0_15:
	s_endpgm
	.section	.rodata,"a",@progbits
	.p2align	6, 0x0
	.amdhsa_kernel fft_rtc_back_len3125_factors_5_5_5_5_5_wgs_125_tpt_125_halfLds_half_ip_CI_sbrr_dirReg
		.amdhsa_group_segment_fixed_size 0
		.amdhsa_private_segment_fixed_size 0
		.amdhsa_kernarg_size 88
		.amdhsa_user_sgpr_count 2
		.amdhsa_user_sgpr_dispatch_ptr 0
		.amdhsa_user_sgpr_queue_ptr 0
		.amdhsa_user_sgpr_kernarg_segment_ptr 1
		.amdhsa_user_sgpr_dispatch_id 0
		.amdhsa_user_sgpr_kernarg_preload_length 0
		.amdhsa_user_sgpr_kernarg_preload_offset 0
		.amdhsa_user_sgpr_private_segment_size 0
		.amdhsa_uses_dynamic_stack 0
		.amdhsa_enable_private_segment 0
		.amdhsa_system_sgpr_workgroup_id_x 1
		.amdhsa_system_sgpr_workgroup_id_y 0
		.amdhsa_system_sgpr_workgroup_id_z 0
		.amdhsa_system_sgpr_workgroup_info 0
		.amdhsa_system_vgpr_workitem_id 0
		.amdhsa_next_free_vgpr 99
		.amdhsa_next_free_sgpr 24
		.amdhsa_accum_offset 100
		.amdhsa_reserve_vcc 1
		.amdhsa_float_round_mode_32 0
		.amdhsa_float_round_mode_16_64 0
		.amdhsa_float_denorm_mode_32 3
		.amdhsa_float_denorm_mode_16_64 3
		.amdhsa_dx10_clamp 1
		.amdhsa_ieee_mode 1
		.amdhsa_fp16_overflow 0
		.amdhsa_tg_split 0
		.amdhsa_exception_fp_ieee_invalid_op 0
		.amdhsa_exception_fp_denorm_src 0
		.amdhsa_exception_fp_ieee_div_zero 0
		.amdhsa_exception_fp_ieee_overflow 0
		.amdhsa_exception_fp_ieee_underflow 0
		.amdhsa_exception_fp_ieee_inexact 0
		.amdhsa_exception_int_div_zero 0
	.end_amdhsa_kernel
	.text
.Lfunc_end0:
	.size	fft_rtc_back_len3125_factors_5_5_5_5_5_wgs_125_tpt_125_halfLds_half_ip_CI_sbrr_dirReg, .Lfunc_end0-fft_rtc_back_len3125_factors_5_5_5_5_5_wgs_125_tpt_125_halfLds_half_ip_CI_sbrr_dirReg
                                        ; -- End function
	.section	.AMDGPU.csdata,"",@progbits
; Kernel info:
; codeLenInByte = 19560
; NumSgprs: 30
; NumVgprs: 99
; NumAgprs: 0
; TotalNumVgprs: 99
; ScratchSize: 0
; MemoryBound: 0
; FloatMode: 240
; IeeeMode: 1
; LDSByteSize: 0 bytes/workgroup (compile time only)
; SGPRBlocks: 3
; VGPRBlocks: 12
; NumSGPRsForWavesPerEU: 30
; NumVGPRsForWavesPerEU: 99
; AccumOffset: 100
; Occupancy: 4
; WaveLimiterHint : 1
; COMPUTE_PGM_RSRC2:SCRATCH_EN: 0
; COMPUTE_PGM_RSRC2:USER_SGPR: 2
; COMPUTE_PGM_RSRC2:TRAP_HANDLER: 0
; COMPUTE_PGM_RSRC2:TGID_X_EN: 1
; COMPUTE_PGM_RSRC2:TGID_Y_EN: 0
; COMPUTE_PGM_RSRC2:TGID_Z_EN: 0
; COMPUTE_PGM_RSRC2:TIDIG_COMP_CNT: 0
; COMPUTE_PGM_RSRC3_GFX90A:ACCUM_OFFSET: 24
; COMPUTE_PGM_RSRC3_GFX90A:TG_SPLIT: 0
	.text
	.p2alignl 6, 3212836864
	.fill 256, 4, 3212836864
	.type	__hip_cuid_5284fea6559d8b49,@object ; @__hip_cuid_5284fea6559d8b49
	.section	.bss,"aw",@nobits
	.globl	__hip_cuid_5284fea6559d8b49
__hip_cuid_5284fea6559d8b49:
	.byte	0                               ; 0x0
	.size	__hip_cuid_5284fea6559d8b49, 1

	.ident	"AMD clang version 19.0.0git (https://github.com/RadeonOpenCompute/llvm-project roc-6.4.0 25133 c7fe45cf4b819c5991fe208aaa96edf142730f1d)"
	.section	".note.GNU-stack","",@progbits
	.addrsig
	.addrsig_sym __hip_cuid_5284fea6559d8b49
	.amdgpu_metadata
---
amdhsa.kernels:
  - .agpr_count:     0
    .args:
      - .actual_access:  read_only
        .address_space:  global
        .offset:         0
        .size:           8
        .value_kind:     global_buffer
      - .offset:         8
        .size:           8
        .value_kind:     by_value
      - .actual_access:  read_only
        .address_space:  global
        .offset:         16
        .size:           8
        .value_kind:     global_buffer
      - .actual_access:  read_only
        .address_space:  global
        .offset:         24
        .size:           8
        .value_kind:     global_buffer
      - .offset:         32
        .size:           8
        .value_kind:     by_value
      - .actual_access:  read_only
        .address_space:  global
        .offset:         40
        .size:           8
        .value_kind:     global_buffer
      - .actual_access:  read_only
        .address_space:  global
        .offset:         48
        .size:           8
        .value_kind:     global_buffer
      - .offset:         56
        .size:           4
        .value_kind:     by_value
      - .actual_access:  read_only
        .address_space:  global
        .offset:         64
        .size:           8
        .value_kind:     global_buffer
      - .actual_access:  read_only
        .address_space:  global
        .offset:         72
        .size:           8
        .value_kind:     global_buffer
      - .address_space:  global
        .offset:         80
        .size:           8
        .value_kind:     global_buffer
    .group_segment_fixed_size: 0
    .kernarg_segment_align: 8
    .kernarg_segment_size: 88
    .language:       OpenCL C
    .language_version:
      - 2
      - 0
    .max_flat_workgroup_size: 125
    .name:           fft_rtc_back_len3125_factors_5_5_5_5_5_wgs_125_tpt_125_halfLds_half_ip_CI_sbrr_dirReg
    .private_segment_fixed_size: 0
    .sgpr_count:     30
    .sgpr_spill_count: 0
    .symbol:         fft_rtc_back_len3125_factors_5_5_5_5_5_wgs_125_tpt_125_halfLds_half_ip_CI_sbrr_dirReg.kd
    .uniform_work_group_size: 1
    .uses_dynamic_stack: false
    .vgpr_count:     99
    .vgpr_spill_count: 0
    .wavefront_size: 64
amdhsa.target:   amdgcn-amd-amdhsa--gfx950
amdhsa.version:
  - 1
  - 2
...

	.end_amdgpu_metadata
